;; amdgpu-corpus repo=ROCm/rocBLAS kind=compiled arch=gfx90a opt=O3
	.text
	.amdgcn_target "amdgcn-amd-amdhsa--gfx90a"
	.amdhsa_code_object_version 6
	.section	.text._ZL25rocblas_symm_scale_kernelILi128ELi8EPKfPfEviiT1_T2_llli,"axG",@progbits,_ZL25rocblas_symm_scale_kernelILi128ELi8EPKfPfEviiT1_T2_llli,comdat
	.globl	_ZL25rocblas_symm_scale_kernelILi128ELi8EPKfPfEviiT1_T2_llli ; -- Begin function _ZL25rocblas_symm_scale_kernelILi128ELi8EPKfPfEviiT1_T2_llli
	.p2align	8
	.type	_ZL25rocblas_symm_scale_kernelILi128ELi8EPKfPfEviiT1_T2_llli,@function
_ZL25rocblas_symm_scale_kernelILi128ELi8EPKfPfEviiT1_T2_llli: ; @_ZL25rocblas_symm_scale_kernelILi128ELi8EPKfPfEviiT1_T2_llli
; %bb.0:
	s_load_dwordx8 s[12:19], s[4:5], 0x8
	s_waitcnt lgkmcnt(0)
	s_load_dword s9, s[12:13], 0x0
	s_waitcnt lgkmcnt(0)
	v_cmp_eq_f32_e64 s[0:1], s9, 1.0
	s_and_b64 vcc, exec, s[0:1]
	s_cbranch_vccnz .LBB0_7
; %bb.1:
	s_load_dwordx2 s[0:1], s[4:5], 0x0
	v_and_b32_e32 v1, 0x3ff, v0
	v_bfe_u32 v0, v0, 10, 10
	v_lshl_add_u32 v2, s6, 7, v1
	v_lshl_add_u32 v0, s7, 3, v0
	v_mov_b32_e32 v1, 0
	s_waitcnt lgkmcnt(0)
	s_ashr_i32 s3, s1, 31
	s_mov_b32 s2, s1
	v_cmp_gt_u32_e32 vcc, s0, v2
	v_cmp_gt_i64_e64 s[0:1], s[2:3], v[0:1]
	s_and_b64 s[0:1], vcc, s[0:1]
	s_and_saveexec_b64 s[6:7], s[0:1]
	s_cbranch_execz .LBB0_7
; %bb.2:
	s_load_dword s6, s[4:5], 0x3c
	s_load_dwordx2 s[0:1], s[4:5], 0x28
	v_mov_b32_e32 v3, v1
	v_lshlrev_b64 v[2:3], 2, v[2:3]
	s_mov_b32 s11, 0
	s_waitcnt lgkmcnt(0)
	s_lshl_b32 s10, s6, 3
	s_mul_i32 s1, s1, s8
	s_mul_hi_u32 s4, s0, s8
	s_add_i32 s1, s4, s1
	v_mad_u64_u32 v[4:5], s[4:5], s18, v0, 0
	v_mov_b32_e32 v6, v5
	s_mul_i32 s0, s0, s8
	v_mad_u64_u32 v[6:7], s[4:5], s19, v0, v[6:7]
	s_lshl_b64 s[0:1], s[0:1], 2
	s_lshl_b64 s[4:5], s[16:17], 2
	v_mov_b32_e32 v5, v6
	s_add_u32 s0, s4, s0
	v_lshlrev_b64 v[4:5], 2, v[4:5]
	s_addc_u32 s1, s5, s1
	v_mov_b32_e32 v6, s1
	v_add_co_u32_e32 v4, vcc, s0, v4
	v_addc_co_u32_e32 v5, vcc, v6, v5, vcc
	v_add_co_u32_e32 v2, vcc, v4, v2
	s_mul_i32 s0, s19, s10
	s_mul_hi_u32 s1, s18, s10
	v_addc_co_u32_e32 v3, vcc, v5, v3, vcc
	s_add_i32 s1, s1, s0
	s_mul_i32 s0, s18, s10
	v_mov_b32_e32 v4, s15
	v_add_co_u32_e32 v2, vcc, s14, v2
	s_lshl_b64 s[4:5], s[0:1], 2
	v_cmp_neq_f32_e64 s[0:1], s9, 0
	v_addc_co_u32_e32 v3, vcc, v4, v3, vcc
	v_cndmask_b32_e64 v4, 0, 1, s[0:1]
	s_mov_b64 s[6:7], 0
	v_cmp_ne_u32_e64 s[0:1], 1, v4
	v_mov_b32_e32 v4, s11
	v_mov_b32_e32 v5, s5
	s_branch .LBB0_5
.LBB0_3:                                ;   in Loop: Header=BB0_5 Depth=1
	global_load_dword v6, v[2:3], off
	s_waitcnt vmcnt(0)
	v_mul_f32_e32 v6, s9, v6
.LBB0_4:                                ;   in Loop: Header=BB0_5 Depth=1
	v_add_co_u32_e32 v0, vcc, s10, v0
	v_addc_co_u32_e32 v1, vcc, v1, v4, vcc
	v_cmp_le_i64_e32 vcc, s[2:3], v[0:1]
	global_store_dword v[2:3], v6, off
	s_or_b64 s[6:7], vcc, s[6:7]
	v_add_co_u32_e32 v2, vcc, s4, v2
	v_addc_co_u32_e32 v3, vcc, v3, v5, vcc
	s_andn2_b64 exec, exec, s[6:7]
	s_cbranch_execz .LBB0_7
.LBB0_5:                                ; =>This Inner Loop Header: Depth=1
	s_and_b64 vcc, exec, s[0:1]
	s_cbranch_vccz .LBB0_3
; %bb.6:                                ;   in Loop: Header=BB0_5 Depth=1
	v_mov_b32_e32 v6, 0
	s_branch .LBB0_4
.LBB0_7:
	s_endpgm
	.section	.rodata,"a",@progbits
	.p2align	6, 0x0
	.amdhsa_kernel _ZL25rocblas_symm_scale_kernelILi128ELi8EPKfPfEviiT1_T2_llli
		.amdhsa_group_segment_fixed_size 0
		.amdhsa_private_segment_fixed_size 0
		.amdhsa_kernarg_size 312
		.amdhsa_user_sgpr_count 6
		.amdhsa_user_sgpr_private_segment_buffer 1
		.amdhsa_user_sgpr_dispatch_ptr 0
		.amdhsa_user_sgpr_queue_ptr 0
		.amdhsa_user_sgpr_kernarg_segment_ptr 1
		.amdhsa_user_sgpr_dispatch_id 0
		.amdhsa_user_sgpr_flat_scratch_init 0
		.amdhsa_user_sgpr_kernarg_preload_length 0
		.amdhsa_user_sgpr_kernarg_preload_offset 0
		.amdhsa_user_sgpr_private_segment_size 0
		.amdhsa_uses_dynamic_stack 0
		.amdhsa_system_sgpr_private_segment_wavefront_offset 0
		.amdhsa_system_sgpr_workgroup_id_x 1
		.amdhsa_system_sgpr_workgroup_id_y 1
		.amdhsa_system_sgpr_workgroup_id_z 1
		.amdhsa_system_sgpr_workgroup_info 0
		.amdhsa_system_vgpr_workitem_id 1
		.amdhsa_next_free_vgpr 8
		.amdhsa_next_free_sgpr 20
		.amdhsa_accum_offset 8
		.amdhsa_reserve_vcc 1
		.amdhsa_reserve_flat_scratch 0
		.amdhsa_float_round_mode_32 0
		.amdhsa_float_round_mode_16_64 0
		.amdhsa_float_denorm_mode_32 3
		.amdhsa_float_denorm_mode_16_64 3
		.amdhsa_dx10_clamp 1
		.amdhsa_ieee_mode 1
		.amdhsa_fp16_overflow 0
		.amdhsa_tg_split 0
		.amdhsa_exception_fp_ieee_invalid_op 0
		.amdhsa_exception_fp_denorm_src 0
		.amdhsa_exception_fp_ieee_div_zero 0
		.amdhsa_exception_fp_ieee_overflow 0
		.amdhsa_exception_fp_ieee_underflow 0
		.amdhsa_exception_fp_ieee_inexact 0
		.amdhsa_exception_int_div_zero 0
	.end_amdhsa_kernel
	.section	.text._ZL25rocblas_symm_scale_kernelILi128ELi8EPKfPfEviiT1_T2_llli,"axG",@progbits,_ZL25rocblas_symm_scale_kernelILi128ELi8EPKfPfEviiT1_T2_llli,comdat
.Lfunc_end0:
	.size	_ZL25rocblas_symm_scale_kernelILi128ELi8EPKfPfEviiT1_T2_llli, .Lfunc_end0-_ZL25rocblas_symm_scale_kernelILi128ELi8EPKfPfEviiT1_T2_llli
                                        ; -- End function
	.section	.AMDGPU.csdata,"",@progbits
; Kernel info:
; codeLenInByte = 392
; NumSgprs: 24
; NumVgprs: 8
; NumAgprs: 0
; TotalNumVgprs: 8
; ScratchSize: 0
; MemoryBound: 0
; FloatMode: 240
; IeeeMode: 1
; LDSByteSize: 0 bytes/workgroup (compile time only)
; SGPRBlocks: 2
; VGPRBlocks: 0
; NumSGPRsForWavesPerEU: 24
; NumVGPRsForWavesPerEU: 8
; AccumOffset: 8
; Occupancy: 8
; WaveLimiterHint : 0
; COMPUTE_PGM_RSRC2:SCRATCH_EN: 0
; COMPUTE_PGM_RSRC2:USER_SGPR: 6
; COMPUTE_PGM_RSRC2:TRAP_HANDLER: 0
; COMPUTE_PGM_RSRC2:TGID_X_EN: 1
; COMPUTE_PGM_RSRC2:TGID_Y_EN: 1
; COMPUTE_PGM_RSRC2:TGID_Z_EN: 1
; COMPUTE_PGM_RSRC2:TIDIG_COMP_CNT: 1
; COMPUTE_PGM_RSRC3_GFX90A:ACCUM_OFFSET: 1
; COMPUTE_PGM_RSRC3_GFX90A:TG_SPLIT: 0
	.section	.text._ZL24rocblas_symm_hemm_kernelILb0ELb0ELi32EPKfS1_PfEvbiiT2_T3_lllS4_lllT4_llli,"axG",@progbits,_ZL24rocblas_symm_hemm_kernelILb0ELb0ELi32EPKfS1_PfEvbiiT2_T3_lllS4_lllT4_llli,comdat
	.globl	_ZL24rocblas_symm_hemm_kernelILb0ELb0ELi32EPKfS1_PfEvbiiT2_T3_lllS4_lllT4_llli ; -- Begin function _ZL24rocblas_symm_hemm_kernelILb0ELb0ELi32EPKfS1_PfEvbiiT2_T3_lllS4_lllT4_llli
	.p2align	8
	.type	_ZL24rocblas_symm_hemm_kernelILb0ELb0ELi32EPKfS1_PfEvbiiT2_T3_lllS4_lllT4_llli,@function
_ZL24rocblas_symm_hemm_kernelILb0ELb0ELi32EPKfS1_PfEvbiiT2_T3_lllS4_lllT4_llli: ; @_ZL24rocblas_symm_hemm_kernelILb0ELb0ELi32EPKfS1_PfEvbiiT2_T3_lllS4_lllT4_llli
; %bb.0:
	s_load_dwordx16 s[12:27], s[4:5], 0x10
	s_waitcnt lgkmcnt(0)
	s_load_dword s33, s[12:13], 0x0
	s_waitcnt lgkmcnt(0)
	v_cmp_eq_f32_e64 s[0:1], s33, 0
	s_and_b64 vcc, exec, s[0:1]
	s_cbranch_vccnz .LBB1_13
; %bb.1:
	s_load_dwordx4 s[28:31], s[4:5], 0x0
	s_waitcnt lgkmcnt(0)
	s_add_i32 s0, s30, -1
	s_ashr_i32 s1, s0, 31
	s_lshr_b32 s1, s1, 27
	s_add_i32 s0, s0, s1
	s_ashr_i32 s31, s0, 5
	s_cmp_gt_i32 s7, s31
	s_cbranch_scc1 .LBB1_13
; %bb.2:
	s_mul_i32 s0, s8, s21
	s_mul_hi_u32 s1, s8, s20
	s_load_dwordx8 s[36:43], s[4:5], 0x50
	s_add_i32 s1, s1, s0
	s_mul_i32 s0, s8, s20
	s_lshl_b64 s[0:1], s[0:1], 2
	s_add_u32 s2, s14, s0
	s_addc_u32 s3, s15, s1
	s_lshl_b64 s[0:1], s[16:17], 2
	s_add_u32 s14, s2, s0
	s_addc_u32 s15, s3, s1
	s_waitcnt lgkmcnt(0)
	s_mul_i32 s0, s8, s37
	s_mul_hi_u32 s1, s8, s36
	s_add_i32 s1, s1, s0
	s_mul_i32 s0, s8, s36
	s_lshl_b64 s[0:1], s[0:1], 2
	s_add_u32 s2, s22, s0
	s_addc_u32 s9, s23, s1
	s_lshl_b64 s[0:1], s[24:25], 2
	s_add_u32 s16, s2, s0
	s_load_dwordx2 s[2:3], s[4:5], 0x70
	s_load_dword s20, s[4:5], 0x84
	s_addc_u32 s17, s9, s1
	s_bitcmp1_b32 s28, 0
	s_cselect_b64 s[0:1], -1, 0
	s_waitcnt lgkmcnt(0)
	s_mul_i32 s3, s8, s3
	s_mul_hi_u32 s4, s8, s2
	s_add_i32 s3, s4, s3
	s_mul_i32 s2, s8, s2
	s_lshl_b64 s[2:3], s[2:3], 2
	s_add_u32 s4, s38, s2
	s_addc_u32 s5, s39, s3
	s_lshl_b64 s[2:3], s[40:41], 2
	v_and_b32_e32 v6, 0x3ff, v0
	s_add_u32 s4, s4, s2
	v_lshl_add_u32 v2, s6, 5, v6
	v_bfe_u32 v7, v0, 10, 10
	s_addc_u32 s5, s5, s3
	v_lshlrev_b32_e32 v0, 2, v7
	v_lshlrev_b32_e32 v8, 7, v6
	v_ashrrev_i32_e32 v3, 31, v2
	s_cmp_gt_i32 s29, 0
	v_add_u32_e32 v9, v8, v0
	v_or_b32_e32 v10, 0x1000, v0
	v_lshlrev_b64 v[0:1], 2, v[2:3]
	v_mov_b32_e32 v4, s5
	v_add_co_u32_e32 v3, vcc, s4, v0
	s_cselect_b64 s[4:5], -1, 0
	v_cndmask_b32_e64 v0, 0, 1, s[4:5]
	v_add_u32_e32 v11, v10, v8
	v_cmp_gt_i32_e64 s[2:3], s29, v2
	v_addc_co_u32_e32 v12, vcc, v4, v1, vcc
	v_cmp_ne_u32_e64 s[4:5], 1, v0
	v_add_u32_e32 v13, 0x400, v10
	v_add_u32_e32 v14, 0x800, v10
	;; [unrolled: 1-line block ×3, first 2 shown]
	s_branch .LBB1_4
.LBB1_3:                                ;   in Loop: Header=BB1_4 Depth=1
	s_add_i32 s7, s7, s20
	s_cmp_gt_i32 s7, s31
	s_cbranch_scc1 .LBB1_13
.LBB1_4:                                ; =>This Loop Header: Depth=1
                                        ;     Child Loop BB1_7 Depth 2
	s_and_b64 vcc, exec, s[4:5]
	s_cbranch_vccnz .LBB1_3
; %bb.5:                                ;   in Loop: Header=BB1_4 Depth=1
	v_lshl_add_u32 v4, s7, 5, v7
	v_ashrrev_i32_e32 v5, 31, v4
	v_mul_lo_u32 v16, v5, s26
	v_mul_lo_u32 v17, v4, s27
	v_mad_u64_u32 v[0:1], s[8:9], v4, s26, 0
	v_add3_u32 v1, v1, v17, v16
	v_lshlrev_b64 v[0:1], 2, v[0:1]
	v_mov_b32_e32 v17, s17
	v_add_co_u32_e64 v16, s[8:9], s16, v0
	v_addc_co_u32_e64 v17, s[8:9], v17, v1, s[8:9]
	v_mul_lo_u32 v5, v5, s42
	v_mul_lo_u32 v18, v4, s43
	v_mad_u64_u32 v[0:1], s[8:9], v4, s42, 0
	v_add3_u32 v1, v1, v18, v5
	v_lshlrev_b64 v[0:1], 2, v[0:1]
	v_cmp_gt_i32_e32 vcc, s30, v4
	v_add_co_u32_e64 v0, s[8:9], v3, v0
	s_and_b64 s[10:11], s[2:3], vcc
	v_addc_co_u32_e64 v1, s[8:9], v12, v1, s[8:9]
	s_mov_b32 s6, 0
	s_branch .LBB1_7
.LBB1_6:                                ;   in Loop: Header=BB1_7 Depth=2
	s_or_b64 exec, exec, s[8:9]
	s_add_i32 s6, s6, 32
	s_cmp_ge_i32 s6, s29
	s_barrier
	s_cbranch_scc1 .LBB1_3
.LBB1_7:                                ;   Parent Loop BB1_4 Depth=1
                                        ; =>  This Inner Loop Header: Depth=2
	v_add_u32_e32 v5, s6, v7
	v_cndmask_b32_e64 v4, v5, v2, s[0:1]
	v_cndmask_b32_e64 v18, v2, v5, s[0:1]
	v_cmp_gt_i32_e64 s[8:9], v4, v18
	v_cndmask_b32_e64 v4, v2, v5, s[8:9]
	v_cndmask_b32_e64 v5, v5, v2, s[8:9]
	v_max_i32_e32 v18, v4, v5
	v_cmp_gt_i32_e64 s[8:9], s29, v18
	v_mov_b32_e32 v18, 0
	v_mov_b32_e32 v19, 0
	s_and_saveexec_b64 s[12:13], s[8:9]
	s_cbranch_execz .LBB1_9
; %bb.8:                                ;   in Loop: Header=BB1_7 Depth=2
	v_ashrrev_i32_e32 v19, 31, v5
	v_mul_lo_u32 v22, v5, s19
	v_mul_lo_u32 v19, v19, s18
	v_mad_u64_u32 v[20:21], s[8:9], v5, s18, 0
	v_add3_u32 v21, v21, v22, v19
	v_lshlrev_b64 v[20:21], 2, v[20:21]
	v_ashrrev_i32_e32 v5, 31, v4
	v_mov_b32_e32 v19, s15
	v_add_co_u32_e64 v20, s[8:9], s14, v20
	v_addc_co_u32_e64 v19, s[8:9], v19, v21, s[8:9]
	v_lshlrev_b64 v[4:5], 2, v[4:5]
	v_add_co_u32_e64 v4, s[8:9], v20, v4
	v_addc_co_u32_e64 v5, s[8:9], v19, v5, s[8:9]
	global_load_dword v19, v[4:5], off
.LBB1_9:                                ;   in Loop: Header=BB1_7 Depth=2
	s_or_b64 exec, exec, s[12:13]
	v_add_u32_e32 v4, s6, v6
	v_cmp_gt_i32_e64 s[8:9], s29, v4
	s_and_b64 s[8:9], s[8:9], vcc
	s_waitcnt vmcnt(0)
	ds_write_b32 v9, v19
	s_and_saveexec_b64 s[12:13], s[8:9]
	s_cbranch_execz .LBB1_11
; %bb.10:                               ;   in Loop: Header=BB1_7 Depth=2
	v_ashrrev_i32_e32 v5, 31, v4
	v_lshlrev_b64 v[4:5], 2, v[4:5]
	v_add_co_u32_e64 v4, s[8:9], v16, v4
	v_addc_co_u32_e64 v5, s[8:9], v17, v5, s[8:9]
	global_load_dword v18, v[4:5], off
.LBB1_11:                               ;   in Loop: Header=BB1_7 Depth=2
	s_or_b64 exec, exec, s[12:13]
	s_waitcnt vmcnt(0)
	ds_write_b32 v11, v18
	s_waitcnt lgkmcnt(0)
	s_barrier
	s_and_saveexec_b64 s[8:9], s[10:11]
	s_cbranch_execz .LBB1_6
; %bb.12:                               ;   in Loop: Header=BB1_7 Depth=2
	global_load_dword v38, v[0:1], off
	ds_read2_b32 v[4:5], v10 offset1:32
	ds_read_b128 v[18:21], v8
	ds_read_b128 v[22:25], v8 offset:16
	ds_read2_b32 v[34:35], v10 offset0:64 offset1:96
	ds_read_b128 v[26:29], v8 offset:32
	ds_read_b128 v[30:33], v8 offset:48
	ds_read2_b32 v[36:37], v10 offset0:128 offset1:160
	s_waitcnt lgkmcnt(5)
	v_fma_f32 v39, v18, v4, 0
	v_fmac_f32_e32 v39, v19, v5
	ds_read2_b32 v[4:5], v10 offset0:192 offset1:224
	s_waitcnt lgkmcnt(4)
	v_fmac_f32_e32 v39, v20, v34
	v_fmac_f32_e32 v39, v21, v35
	ds_read2_b32 v[18:19], v13 offset1:32
	s_waitcnt lgkmcnt(2)
	v_fmac_f32_e32 v39, v22, v36
	v_fmac_f32_e32 v39, v23, v37
	ds_read2_b32 v[20:21], v13 offset0:64 offset1:96
	s_waitcnt lgkmcnt(2)
	v_fmac_f32_e32 v39, v24, v4
	v_fmac_f32_e32 v39, v25, v5
	ds_read2_b32 v[4:5], v13 offset0:128 offset1:160
	s_waitcnt lgkmcnt(2)
	v_fmac_f32_e32 v39, v26, v18
	v_fmac_f32_e32 v39, v27, v19
	s_waitcnt lgkmcnt(1)
	v_fmac_f32_e32 v39, v28, v20
	ds_read2_b32 v[22:23], v13 offset0:192 offset1:224
	v_fmac_f32_e32 v39, v29, v21
	s_waitcnt lgkmcnt(1)
	v_fmac_f32_e32 v39, v30, v4
	v_fmac_f32_e32 v39, v31, v5
	ds_read2_b32 v[4:5], v14 offset1:32
	ds_read_b128 v[18:21], v8 offset:64
	s_waitcnt lgkmcnt(2)
	v_fmac_f32_e32 v39, v32, v22
	v_fmac_f32_e32 v39, v33, v23
	ds_read2_b32 v[26:27], v14 offset0:64 offset1:96
	ds_read_b128 v[22:25], v8 offset:80
	ds_read2_b32 v[28:29], v14 offset0:128 offset1:160
	s_waitcnt lgkmcnt(3)
	v_fmac_f32_e32 v39, v18, v4
	v_fmac_f32_e32 v39, v19, v5
	ds_read2_b32 v[4:5], v14 offset0:192 offset1:224
	s_waitcnt lgkmcnt(3)
	v_fmac_f32_e32 v39, v20, v26
	v_fmac_f32_e32 v39, v21, v27
	ds_read2_b32 v[26:27], v15 offset1:32
	ds_read_b128 v[18:21], v8 offset:96
	s_waitcnt lgkmcnt(3)
	v_fmac_f32_e32 v39, v22, v28
	v_fmac_f32_e32 v39, v23, v29
	s_waitcnt lgkmcnt(2)
	v_pk_mul_f32 v[4:5], v[24:25], v[4:5]
	v_add_f32_e32 v4, v39, v4
	v_add_f32_e32 v28, v4, v5
	ds_read2_b32 v[4:5], v15 offset0:64 offset1:96
	ds_read_b128 v[22:25], v8 offset:112
	s_waitcnt lgkmcnt(2)
	v_pk_mul_f32 v[18:19], v[18:19], v[26:27]
	v_add_f32_e32 v18, v28, v18
	v_add_f32_e32 v26, v18, v19
	ds_read2_b32 v[18:19], v15 offset0:128 offset1:160
	s_waitcnt lgkmcnt(2)
	v_pk_mul_f32 v[4:5], v[20:21], v[4:5]
	ds_read2_b32 v[20:21], v15 offset0:192 offset1:224
	v_add_f32_e32 v4, v26, v4
	v_add_f32_e32 v26, v4, v5
	s_waitcnt lgkmcnt(1)
	v_pk_mul_f32 v[4:5], v[22:23], v[18:19]
	v_add_f32_e32 v4, v26, v4
	v_add_f32_e32 v18, v4, v5
	s_waitcnt lgkmcnt(0)
	v_pk_mul_f32 v[4:5], v[24:25], v[20:21]
	v_add_f32_e32 v4, v18, v4
	v_add_f32_e32 v4, v4, v5
	s_waitcnt vmcnt(0)
	v_fmac_f32_e32 v38, s33, v4
	global_store_dword v[0:1], v38, off
	s_branch .LBB1_6
.LBB1_13:
	s_endpgm
	.section	.rodata,"a",@progbits
	.p2align	6, 0x0
	.amdhsa_kernel _ZL24rocblas_symm_hemm_kernelILb0ELb0ELi32EPKfS1_PfEvbiiT2_T3_lllS4_lllT4_llli
		.amdhsa_group_segment_fixed_size 8192
		.amdhsa_private_segment_fixed_size 0
		.amdhsa_kernarg_size 384
		.amdhsa_user_sgpr_count 6
		.amdhsa_user_sgpr_private_segment_buffer 1
		.amdhsa_user_sgpr_dispatch_ptr 0
		.amdhsa_user_sgpr_queue_ptr 0
		.amdhsa_user_sgpr_kernarg_segment_ptr 1
		.amdhsa_user_sgpr_dispatch_id 0
		.amdhsa_user_sgpr_flat_scratch_init 0
		.amdhsa_user_sgpr_kernarg_preload_length 0
		.amdhsa_user_sgpr_kernarg_preload_offset 0
		.amdhsa_user_sgpr_private_segment_size 0
		.amdhsa_uses_dynamic_stack 0
		.amdhsa_system_sgpr_private_segment_wavefront_offset 0
		.amdhsa_system_sgpr_workgroup_id_x 1
		.amdhsa_system_sgpr_workgroup_id_y 1
		.amdhsa_system_sgpr_workgroup_id_z 1
		.amdhsa_system_sgpr_workgroup_info 0
		.amdhsa_system_vgpr_workitem_id 1
		.amdhsa_next_free_vgpr 40
		.amdhsa_next_free_sgpr 44
		.amdhsa_accum_offset 40
		.amdhsa_reserve_vcc 1
		.amdhsa_reserve_flat_scratch 0
		.amdhsa_float_round_mode_32 0
		.amdhsa_float_round_mode_16_64 0
		.amdhsa_float_denorm_mode_32 3
		.amdhsa_float_denorm_mode_16_64 3
		.amdhsa_dx10_clamp 1
		.amdhsa_ieee_mode 1
		.amdhsa_fp16_overflow 0
		.amdhsa_tg_split 0
		.amdhsa_exception_fp_ieee_invalid_op 0
		.amdhsa_exception_fp_denorm_src 0
		.amdhsa_exception_fp_ieee_div_zero 0
		.amdhsa_exception_fp_ieee_overflow 0
		.amdhsa_exception_fp_ieee_underflow 0
		.amdhsa_exception_fp_ieee_inexact 0
		.amdhsa_exception_int_div_zero 0
	.end_amdhsa_kernel
	.section	.text._ZL24rocblas_symm_hemm_kernelILb0ELb0ELi32EPKfS1_PfEvbiiT2_T3_lllS4_lllT4_llli,"axG",@progbits,_ZL24rocblas_symm_hemm_kernelILb0ELb0ELi32EPKfS1_PfEvbiiT2_T3_lllS4_lllT4_llli,comdat
.Lfunc_end1:
	.size	_ZL24rocblas_symm_hemm_kernelILb0ELb0ELi32EPKfS1_PfEvbiiT2_T3_lllS4_lllT4_llli, .Lfunc_end1-_ZL24rocblas_symm_hemm_kernelILb0ELb0ELi32EPKfS1_PfEvbiiT2_T3_lllS4_lllT4_llli
                                        ; -- End function
	.section	.AMDGPU.csdata,"",@progbits
; Kernel info:
; codeLenInByte = 1296
; NumSgprs: 48
; NumVgprs: 40
; NumAgprs: 0
; TotalNumVgprs: 40
; ScratchSize: 0
; MemoryBound: 0
; FloatMode: 240
; IeeeMode: 1
; LDSByteSize: 8192 bytes/workgroup (compile time only)
; SGPRBlocks: 5
; VGPRBlocks: 4
; NumSGPRsForWavesPerEU: 48
; NumVGPRsForWavesPerEU: 40
; AccumOffset: 40
; Occupancy: 8
; WaveLimiterHint : 0
; COMPUTE_PGM_RSRC2:SCRATCH_EN: 0
; COMPUTE_PGM_RSRC2:USER_SGPR: 6
; COMPUTE_PGM_RSRC2:TRAP_HANDLER: 0
; COMPUTE_PGM_RSRC2:TGID_X_EN: 1
; COMPUTE_PGM_RSRC2:TGID_Y_EN: 1
; COMPUTE_PGM_RSRC2:TGID_Z_EN: 1
; COMPUTE_PGM_RSRC2:TIDIG_COMP_CNT: 1
; COMPUTE_PGM_RSRC3_GFX90A:ACCUM_OFFSET: 9
; COMPUTE_PGM_RSRC3_GFX90A:TG_SPLIT: 0
	.section	.text._ZL24rocblas_symm_hemm_kernelILb0ELb1ELi32EPKfS1_PfEvbiiT2_T3_lllS4_lllT4_llli,"axG",@progbits,_ZL24rocblas_symm_hemm_kernelILb0ELb1ELi32EPKfS1_PfEvbiiT2_T3_lllS4_lllT4_llli,comdat
	.globl	_ZL24rocblas_symm_hemm_kernelILb0ELb1ELi32EPKfS1_PfEvbiiT2_T3_lllS4_lllT4_llli ; -- Begin function _ZL24rocblas_symm_hemm_kernelILb0ELb1ELi32EPKfS1_PfEvbiiT2_T3_lllS4_lllT4_llli
	.p2align	8
	.type	_ZL24rocblas_symm_hemm_kernelILb0ELb1ELi32EPKfS1_PfEvbiiT2_T3_lllS4_lllT4_llli,@function
_ZL24rocblas_symm_hemm_kernelILb0ELb1ELi32EPKfS1_PfEvbiiT2_T3_lllS4_lllT4_llli: ; @_ZL24rocblas_symm_hemm_kernelILb0ELb1ELi32EPKfS1_PfEvbiiT2_T3_lllS4_lllT4_llli
; %bb.0:
	s_load_dwordx16 s[12:27], s[4:5], 0x10
	s_waitcnt lgkmcnt(0)
	s_load_dword s12, s[12:13], 0x0
	s_waitcnt lgkmcnt(0)
	v_cmp_eq_f32_e64 s[0:1], s12, 0
	s_and_b64 vcc, exec, s[0:1]
	s_cbranch_vccnz .LBB2_13
; %bb.1:
	s_load_dwordx4 s[28:31], s[4:5], 0x0
	s_waitcnt lgkmcnt(0)
	s_add_i32 s0, s30, -1
	s_ashr_i32 s1, s0, 31
	s_lshr_b32 s1, s1, 27
	s_add_i32 s0, s0, s1
	s_ashr_i32 s13, s0, 5
	s_cmp_gt_i32 s7, s13
	s_cbranch_scc1 .LBB2_13
; %bb.2:
	s_mul_i32 s0, s8, s21
	s_mul_hi_u32 s1, s8, s20
	s_add_i32 s1, s1, s0
	s_mul_i32 s0, s8, s20
	s_lshl_b64 s[0:1], s[0:1], 2
	s_add_u32 s2, s14, s0
	s_addc_u32 s3, s15, s1
	s_lshl_b64 s[0:1], s[16:17], 2
	s_add_u32 s14, s2, s0
	s_addc_u32 s15, s3, s1
	s_load_dwordx2 s[2:3], s[4:5], 0x70
	s_load_dwordx8 s[36:43], s[4:5], 0x50
	s_load_dword s16, s[4:5], 0x84
	s_bitcmp1_b32 s28, 0
	s_cselect_b64 s[0:1], -1, 0
	v_and_b32_e32 v4, 0x3ff, v0
	s_waitcnt lgkmcnt(0)
	s_mul_i32 s3, s8, s3
	s_mul_hi_u32 s4, s8, s2
	s_add_i32 s3, s4, s3
	s_mul_i32 s2, s8, s2
	s_lshl_b64 s[2:3], s[2:3], 2
	s_add_u32 s4, s38, s2
	s_addc_u32 s5, s39, s3
	s_lshl_b64 s[2:3], s[40:41], 2
	s_add_u32 s4, s4, s2
	s_addc_u32 s5, s5, s3
	s_mul_i32 s2, s8, s37
	s_mul_hi_u32 s3, s8, s36
	s_add_i32 s3, s3, s2
	s_mul_i32 s2, s8, s36
	s_lshl_b64 s[2:3], s[2:3], 2
	s_add_u32 s8, s22, s2
	s_addc_u32 s9, s23, s3
	s_lshl_b64 s[2:3], s[24:25], 2
	v_lshl_add_u32 v2, s6, 5, v4
	s_add_u32 s8, s8, s2
	v_ashrrev_i32_e32 v3, 31, v2
	s_addc_u32 s9, s9, s3
	v_bfe_u32 v5, v0, 10, 10
	v_lshlrev_b64 v[0:1], 2, v[2:3]
	v_cmp_gt_i32_e64 s[2:3], s29, v2
	v_mov_b32_e32 v2, s9
	v_add_co_u32_e32 v6, vcc, s8, v0
	s_cmp_gt_i32 s30, 0
	v_addc_co_u32_e32 v7, vcc, v2, v1, vcc
	v_lshlrev_b32_e32 v2, 2, v5
	v_lshlrev_b32_e32 v8, 7, v4
	v_add_u32_e32 v9, v8, v2
	v_or_b32_e32 v10, 0x1000, v2
	v_mov_b32_e32 v2, s5
	v_add_co_u32_e32 v12, vcc, s4, v0
	s_cselect_b64 s[4:5], -1, 0
	v_cndmask_b32_e64 v0, 0, 1, s[4:5]
	v_add_u32_e32 v11, v10, v8
	v_addc_co_u32_e32 v13, vcc, v2, v1, vcc
	v_cmp_ne_u32_e64 s[4:5], 1, v0
	v_add_u32_e32 v14, 0x400, v10
	v_add_u32_e32 v15, 0x800, v10
	;; [unrolled: 1-line block ×3, first 2 shown]
	s_branch .LBB2_4
.LBB2_3:                                ;   in Loop: Header=BB2_4 Depth=1
	s_add_i32 s7, s7, s16
	s_cmp_gt_i32 s7, s13
	s_cbranch_scc1 .LBB2_13
.LBB2_4:                                ; =>This Loop Header: Depth=1
                                        ;     Child Loop BB2_7 Depth 2
	s_and_b64 vcc, exec, s[4:5]
	s_cbranch_vccnz .LBB2_3
; %bb.5:                                ;   in Loop: Header=BB2_4 Depth=1
	v_lshl_add_u32 v17, s7, 5, v5
	v_ashrrev_i32_e32 v0, 31, v17
	v_mul_lo_u32 v2, v0, s42
	v_mul_lo_u32 v3, v17, s43
	v_mad_u64_u32 v[0:1], s[10:11], v17, s42, 0
	v_add3_u32 v1, v1, v3, v2
	v_cmp_gt_i32_e32 vcc, s30, v17
	v_lshlrev_b64 v[0:1], 2, v[0:1]
	s_and_b64 s[8:9], s[2:3], vcc
	v_add_co_u32_e32 v0, vcc, v12, v0
	v_addc_co_u32_e32 v1, vcc, v13, v1, vcc
	s_mov_b32 s6, 0
	s_branch .LBB2_7
.LBB2_6:                                ;   in Loop: Header=BB2_7 Depth=2
	s_or_b64 exec, exec, s[10:11]
	s_add_i32 s6, s6, 32
	s_cmp_ge_i32 s6, s30
	s_barrier
	s_cbranch_scc1 .LBB2_3
.LBB2_7:                                ;   Parent Loop BB2_4 Depth=1
                                        ; =>  This Inner Loop Header: Depth=2
	v_add_u32_e32 v2, s6, v5
	v_cmp_gt_i32_e32 vcc, s30, v2
	s_and_b64 s[20:21], s[2:3], vcc
	v_mov_b32_e32 v3, 0
	v_mov_b32_e32 v18, 0
	s_and_saveexec_b64 s[10:11], s[20:21]
	s_cbranch_execz .LBB2_9
; %bb.8:                                ;   in Loop: Header=BB2_7 Depth=2
	v_ashrrev_i32_e32 v18, 31, v2
	v_mul_lo_u32 v20, v2, s27
	v_mul_lo_u32 v21, v18, s26
	v_mad_u64_u32 v[18:19], s[20:21], v2, s26, 0
	v_add3_u32 v19, v19, v20, v21
	v_lshlrev_b64 v[18:19], 2, v[18:19]
	v_add_co_u32_e32 v18, vcc, v6, v18
	v_addc_co_u32_e32 v19, vcc, v7, v19, vcc
	global_load_dword v18, v[18:19], off
.LBB2_9:                                ;   in Loop: Header=BB2_7 Depth=2
	s_or_b64 exec, exec, s[10:11]
	s_waitcnt vmcnt(0)
	ds_write_b32 v9, v18
	v_add_u32_e32 v18, s6, v4
	v_cndmask_b32_e64 v2, v17, v18, s[0:1]
	v_cndmask_b32_e64 v19, v18, v17, s[0:1]
	v_cmp_gt_i32_e32 vcc, v2, v19
	v_cndmask_b32_e32 v2, v18, v17, vcc
	v_cndmask_b32_e32 v18, v17, v18, vcc
	v_max_i32_e32 v19, v2, v18
	v_cmp_gt_i32_e32 vcc, s30, v19
	s_and_saveexec_b64 s[10:11], vcc
	s_cbranch_execz .LBB2_11
; %bb.10:                               ;   in Loop: Header=BB2_7 Depth=2
	v_ashrrev_i32_e32 v3, 31, v18
	v_mul_lo_u32 v20, v18, s19
	v_mul_lo_u32 v3, v3, s18
	v_mad_u64_u32 v[18:19], s[20:21], v18, s18, 0
	v_add3_u32 v19, v19, v20, v3
	v_lshlrev_b64 v[18:19], 2, v[18:19]
	v_ashrrev_i32_e32 v3, 31, v2
	v_mov_b32_e32 v20, s15
	v_add_co_u32_e32 v18, vcc, s14, v18
	v_addc_co_u32_e32 v19, vcc, v20, v19, vcc
	v_lshlrev_b64 v[2:3], 2, v[2:3]
	v_add_co_u32_e32 v2, vcc, v18, v2
	v_addc_co_u32_e32 v3, vcc, v19, v3, vcc
	global_load_dword v3, v[2:3], off
.LBB2_11:                               ;   in Loop: Header=BB2_7 Depth=2
	s_or_b64 exec, exec, s[10:11]
	s_waitcnt vmcnt(0)
	ds_write_b32 v11, v3
	s_waitcnt lgkmcnt(0)
	s_barrier
	s_and_saveexec_b64 s[10:11], s[8:9]
	s_cbranch_execz .LBB2_6
; %bb.12:                               ;   in Loop: Header=BB2_7 Depth=2
	global_load_dword v38, v[0:1], off
	ds_read2_b32 v[2:3], v10 offset1:32
	ds_read_b128 v[18:21], v8
	ds_read_b128 v[22:25], v8 offset:16
	ds_read2_b32 v[34:35], v10 offset0:64 offset1:96
	ds_read_b128 v[26:29], v8 offset:32
	ds_read_b128 v[30:33], v8 offset:48
	ds_read2_b32 v[36:37], v10 offset0:128 offset1:160
	s_waitcnt lgkmcnt(5)
	v_fma_f32 v39, v18, v2, 0
	v_fmac_f32_e32 v39, v19, v3
	ds_read2_b32 v[2:3], v10 offset0:192 offset1:224
	s_waitcnt lgkmcnt(4)
	v_fmac_f32_e32 v39, v20, v34
	v_fmac_f32_e32 v39, v21, v35
	ds_read2_b32 v[18:19], v14 offset1:32
	s_waitcnt lgkmcnt(2)
	v_fmac_f32_e32 v39, v22, v36
	v_fmac_f32_e32 v39, v23, v37
	ds_read2_b32 v[20:21], v14 offset0:64 offset1:96
	s_waitcnt lgkmcnt(2)
	v_fmac_f32_e32 v39, v24, v2
	v_fmac_f32_e32 v39, v25, v3
	ds_read2_b32 v[2:3], v14 offset0:128 offset1:160
	s_waitcnt lgkmcnt(2)
	v_fmac_f32_e32 v39, v26, v18
	v_fmac_f32_e32 v39, v27, v19
	s_waitcnt lgkmcnt(1)
	v_fmac_f32_e32 v39, v28, v20
	ds_read2_b32 v[22:23], v14 offset0:192 offset1:224
	v_fmac_f32_e32 v39, v29, v21
	s_waitcnt lgkmcnt(1)
	v_fmac_f32_e32 v39, v30, v2
	v_fmac_f32_e32 v39, v31, v3
	ds_read2_b32 v[2:3], v15 offset1:32
	ds_read_b128 v[18:21], v8 offset:64
	s_waitcnt lgkmcnt(2)
	v_fmac_f32_e32 v39, v32, v22
	v_fmac_f32_e32 v39, v33, v23
	ds_read2_b32 v[26:27], v15 offset0:64 offset1:96
	ds_read_b128 v[22:25], v8 offset:80
	ds_read2_b32 v[28:29], v15 offset0:128 offset1:160
	s_waitcnt lgkmcnt(3)
	v_fmac_f32_e32 v39, v18, v2
	v_fmac_f32_e32 v39, v19, v3
	ds_read2_b32 v[2:3], v15 offset0:192 offset1:224
	s_waitcnt lgkmcnt(3)
	v_fmac_f32_e32 v39, v20, v26
	v_fmac_f32_e32 v39, v21, v27
	ds_read2_b32 v[26:27], v16 offset1:32
	ds_read_b128 v[18:21], v8 offset:96
	s_waitcnt lgkmcnt(3)
	v_fmac_f32_e32 v39, v22, v28
	v_fmac_f32_e32 v39, v23, v29
	s_waitcnt lgkmcnt(2)
	v_pk_mul_f32 v[2:3], v[24:25], v[2:3]
	v_add_f32_e32 v2, v39, v2
	v_add_f32_e32 v28, v2, v3
	ds_read2_b32 v[2:3], v16 offset0:64 offset1:96
	ds_read_b128 v[22:25], v8 offset:112
	s_waitcnt lgkmcnt(2)
	v_pk_mul_f32 v[18:19], v[18:19], v[26:27]
	v_add_f32_e32 v18, v28, v18
	v_add_f32_e32 v26, v18, v19
	ds_read2_b32 v[18:19], v16 offset0:128 offset1:160
	s_waitcnt lgkmcnt(2)
	v_pk_mul_f32 v[2:3], v[20:21], v[2:3]
	ds_read2_b32 v[20:21], v16 offset0:192 offset1:224
	v_add_f32_e32 v2, v26, v2
	v_add_f32_e32 v26, v2, v3
	s_waitcnt lgkmcnt(1)
	v_pk_mul_f32 v[2:3], v[22:23], v[18:19]
	v_add_f32_e32 v2, v26, v2
	v_add_f32_e32 v18, v2, v3
	s_waitcnt lgkmcnt(0)
	v_pk_mul_f32 v[2:3], v[24:25], v[20:21]
	v_add_f32_e32 v2, v18, v2
	v_add_f32_e32 v2, v2, v3
	s_waitcnt vmcnt(0)
	v_fmac_f32_e32 v38, s12, v2
	global_store_dword v[0:1], v38, off
	s_branch .LBB2_6
.LBB2_13:
	s_endpgm
	.section	.rodata,"a",@progbits
	.p2align	6, 0x0
	.amdhsa_kernel _ZL24rocblas_symm_hemm_kernelILb0ELb1ELi32EPKfS1_PfEvbiiT2_T3_lllS4_lllT4_llli
		.amdhsa_group_segment_fixed_size 8192
		.amdhsa_private_segment_fixed_size 0
		.amdhsa_kernarg_size 384
		.amdhsa_user_sgpr_count 6
		.amdhsa_user_sgpr_private_segment_buffer 1
		.amdhsa_user_sgpr_dispatch_ptr 0
		.amdhsa_user_sgpr_queue_ptr 0
		.amdhsa_user_sgpr_kernarg_segment_ptr 1
		.amdhsa_user_sgpr_dispatch_id 0
		.amdhsa_user_sgpr_flat_scratch_init 0
		.amdhsa_user_sgpr_kernarg_preload_length 0
		.amdhsa_user_sgpr_kernarg_preload_offset 0
		.amdhsa_user_sgpr_private_segment_size 0
		.amdhsa_uses_dynamic_stack 0
		.amdhsa_system_sgpr_private_segment_wavefront_offset 0
		.amdhsa_system_sgpr_workgroup_id_x 1
		.amdhsa_system_sgpr_workgroup_id_y 1
		.amdhsa_system_sgpr_workgroup_id_z 1
		.amdhsa_system_sgpr_workgroup_info 0
		.amdhsa_system_vgpr_workitem_id 1
		.amdhsa_next_free_vgpr 40
		.amdhsa_next_free_sgpr 44
		.amdhsa_accum_offset 40
		.amdhsa_reserve_vcc 1
		.amdhsa_reserve_flat_scratch 0
		.amdhsa_float_round_mode_32 0
		.amdhsa_float_round_mode_16_64 0
		.amdhsa_float_denorm_mode_32 3
		.amdhsa_float_denorm_mode_16_64 3
		.amdhsa_dx10_clamp 1
		.amdhsa_ieee_mode 1
		.amdhsa_fp16_overflow 0
		.amdhsa_tg_split 0
		.amdhsa_exception_fp_ieee_invalid_op 0
		.amdhsa_exception_fp_denorm_src 0
		.amdhsa_exception_fp_ieee_div_zero 0
		.amdhsa_exception_fp_ieee_overflow 0
		.amdhsa_exception_fp_ieee_underflow 0
		.amdhsa_exception_fp_ieee_inexact 0
		.amdhsa_exception_int_div_zero 0
	.end_amdhsa_kernel
	.section	.text._ZL24rocblas_symm_hemm_kernelILb0ELb1ELi32EPKfS1_PfEvbiiT2_T3_lllS4_lllT4_llli,"axG",@progbits,_ZL24rocblas_symm_hemm_kernelILb0ELb1ELi32EPKfS1_PfEvbiiT2_T3_lllS4_lllT4_llli,comdat
.Lfunc_end2:
	.size	_ZL24rocblas_symm_hemm_kernelILb0ELb1ELi32EPKfS1_PfEvbiiT2_T3_lllS4_lllT4_llli, .Lfunc_end2-_ZL24rocblas_symm_hemm_kernelILb0ELb1ELi32EPKfS1_PfEvbiiT2_T3_lllS4_lllT4_llli
                                        ; -- End function
	.section	.AMDGPU.csdata,"",@progbits
; Kernel info:
; codeLenInByte = 1224
; NumSgprs: 48
; NumVgprs: 40
; NumAgprs: 0
; TotalNumVgprs: 40
; ScratchSize: 0
; MemoryBound: 0
; FloatMode: 240
; IeeeMode: 1
; LDSByteSize: 8192 bytes/workgroup (compile time only)
; SGPRBlocks: 5
; VGPRBlocks: 4
; NumSGPRsForWavesPerEU: 48
; NumVGPRsForWavesPerEU: 40
; AccumOffset: 40
; Occupancy: 8
; WaveLimiterHint : 0
; COMPUTE_PGM_RSRC2:SCRATCH_EN: 0
; COMPUTE_PGM_RSRC2:USER_SGPR: 6
; COMPUTE_PGM_RSRC2:TRAP_HANDLER: 0
; COMPUTE_PGM_RSRC2:TGID_X_EN: 1
; COMPUTE_PGM_RSRC2:TGID_Y_EN: 1
; COMPUTE_PGM_RSRC2:TGID_Z_EN: 1
; COMPUTE_PGM_RSRC2:TIDIG_COMP_CNT: 1
; COMPUTE_PGM_RSRC3_GFX90A:ACCUM_OFFSET: 9
; COMPUTE_PGM_RSRC3_GFX90A:TG_SPLIT: 0
	.section	.text._ZL25rocblas_symm_scale_kernelILi128ELi8EfPfEviiT1_T2_llli,"axG",@progbits,_ZL25rocblas_symm_scale_kernelILi128ELi8EfPfEviiT1_T2_llli,comdat
	.globl	_ZL25rocblas_symm_scale_kernelILi128ELi8EfPfEviiT1_T2_llli ; -- Begin function _ZL25rocblas_symm_scale_kernelILi128ELi8EfPfEviiT1_T2_llli
	.p2align	8
	.type	_ZL25rocblas_symm_scale_kernelILi128ELi8EfPfEviiT1_T2_llli,@function
_ZL25rocblas_symm_scale_kernelILi128ELi8EfPfEviiT1_T2_llli: ; @_ZL25rocblas_symm_scale_kernelILi128ELi8EfPfEviiT1_T2_llli
; %bb.0:
	s_load_dwordx4 s[0:3], s[4:5], 0x0
	s_waitcnt lgkmcnt(0)
	v_cmp_eq_f32_e64 s[10:11], s2, 1.0
	s_and_b64 vcc, exec, s[10:11]
	s_cbranch_vccnz .LBB3_7
; %bb.1:
	v_and_b32_e32 v1, 0x3ff, v0
	v_bfe_u32 v0, v0, 10, 10
	v_lshl_add_u32 v2, s6, 7, v1
	v_lshl_add_u32 v0, s7, 3, v0
	v_mov_b32_e32 v1, 0
	s_ashr_i32 s7, s1, 31
	s_mov_b32 s6, s1
	v_cmp_gt_u32_e32 vcc, s0, v2
	v_cmp_gt_i64_e64 s[0:1], s[6:7], v[0:1]
	s_and_b64 s[0:1], vcc, s[0:1]
	s_and_saveexec_b64 s[10:11], s[0:1]
	s_cbranch_execz .LBB3_7
; %bb.2:
	s_load_dword s0, s[4:5], 0x3c
	s_load_dwordx8 s[12:19], s[4:5], 0x10
	v_mov_b32_e32 v3, v1
	v_lshlrev_b64 v[2:3], 2, v[2:3]
	s_mov_b32 s10, 0
	s_waitcnt lgkmcnt(0)
	s_lshl_b32 s3, s0, 3
	v_mad_u64_u32 v[4:5], s[4:5], s16, v0, 0
	s_mul_i32 s0, s19, s8
	s_mul_hi_u32 s1, s18, s8
	v_mov_b32_e32 v6, v5
	s_add_i32 s1, s1, s0
	s_mul_i32 s0, s18, s8
	v_mad_u64_u32 v[6:7], s[4:5], s17, v0, v[6:7]
	s_lshl_b64 s[0:1], s[0:1], 2
	s_lshl_b64 s[4:5], s[14:15], 2
	v_mov_b32_e32 v5, v6
	s_add_u32 s0, s4, s0
	v_lshlrev_b64 v[4:5], 2, v[4:5]
	s_addc_u32 s1, s5, s1
	v_mov_b32_e32 v6, s1
	v_add_co_u32_e32 v4, vcc, s0, v4
	v_addc_co_u32_e32 v5, vcc, v6, v5, vcc
	v_add_co_u32_e32 v2, vcc, v4, v2
	s_mul_i32 s0, s17, s3
	s_mul_hi_u32 s1, s16, s3
	v_addc_co_u32_e32 v3, vcc, v5, v3, vcc
	s_add_i32 s1, s1, s0
	s_mul_i32 s0, s16, s3
	v_mov_b32_e32 v4, s13
	v_add_co_u32_e32 v2, vcc, s12, v2
	s_lshl_b64 s[4:5], s[0:1], 2
	v_cmp_neq_f32_e64 s[0:1], s2, 0
	v_addc_co_u32_e32 v3, vcc, v4, v3, vcc
	v_cndmask_b32_e64 v4, 0, 1, s[0:1]
	s_mov_b64 s[8:9], 0
	v_cmp_ne_u32_e64 s[0:1], 1, v4
	v_mov_b32_e32 v4, s10
	v_mov_b32_e32 v5, s5
	s_branch .LBB3_5
.LBB3_3:                                ;   in Loop: Header=BB3_5 Depth=1
	global_load_dword v6, v[2:3], off
	s_waitcnt vmcnt(0)
	v_mul_f32_e32 v6, s2, v6
.LBB3_4:                                ;   in Loop: Header=BB3_5 Depth=1
	v_add_co_u32_e32 v0, vcc, s3, v0
	v_addc_co_u32_e32 v1, vcc, v1, v4, vcc
	v_cmp_le_i64_e32 vcc, s[6:7], v[0:1]
	global_store_dword v[2:3], v6, off
	s_or_b64 s[8:9], vcc, s[8:9]
	v_add_co_u32_e32 v2, vcc, s4, v2
	v_addc_co_u32_e32 v3, vcc, v3, v5, vcc
	s_andn2_b64 exec, exec, s[8:9]
	s_cbranch_execz .LBB3_7
.LBB3_5:                                ; =>This Inner Loop Header: Depth=1
	s_and_b64 vcc, exec, s[0:1]
	s_cbranch_vccz .LBB3_3
; %bb.6:                                ;   in Loop: Header=BB3_5 Depth=1
	v_mov_b32_e32 v6, 0
	s_branch .LBB3_4
.LBB3_7:
	s_endpgm
	.section	.rodata,"a",@progbits
	.p2align	6, 0x0
	.amdhsa_kernel _ZL25rocblas_symm_scale_kernelILi128ELi8EfPfEviiT1_T2_llli
		.amdhsa_group_segment_fixed_size 0
		.amdhsa_private_segment_fixed_size 0
		.amdhsa_kernarg_size 312
		.amdhsa_user_sgpr_count 6
		.amdhsa_user_sgpr_private_segment_buffer 1
		.amdhsa_user_sgpr_dispatch_ptr 0
		.amdhsa_user_sgpr_queue_ptr 0
		.amdhsa_user_sgpr_kernarg_segment_ptr 1
		.amdhsa_user_sgpr_dispatch_id 0
		.amdhsa_user_sgpr_flat_scratch_init 0
		.amdhsa_user_sgpr_kernarg_preload_length 0
		.amdhsa_user_sgpr_kernarg_preload_offset 0
		.amdhsa_user_sgpr_private_segment_size 0
		.amdhsa_uses_dynamic_stack 0
		.amdhsa_system_sgpr_private_segment_wavefront_offset 0
		.amdhsa_system_sgpr_workgroup_id_x 1
		.amdhsa_system_sgpr_workgroup_id_y 1
		.amdhsa_system_sgpr_workgroup_id_z 1
		.amdhsa_system_sgpr_workgroup_info 0
		.amdhsa_system_vgpr_workitem_id 1
		.amdhsa_next_free_vgpr 8
		.amdhsa_next_free_sgpr 20
		.amdhsa_accum_offset 8
		.amdhsa_reserve_vcc 1
		.amdhsa_reserve_flat_scratch 0
		.amdhsa_float_round_mode_32 0
		.amdhsa_float_round_mode_16_64 0
		.amdhsa_float_denorm_mode_32 3
		.amdhsa_float_denorm_mode_16_64 3
		.amdhsa_dx10_clamp 1
		.amdhsa_ieee_mode 1
		.amdhsa_fp16_overflow 0
		.amdhsa_tg_split 0
		.amdhsa_exception_fp_ieee_invalid_op 0
		.amdhsa_exception_fp_denorm_src 0
		.amdhsa_exception_fp_ieee_div_zero 0
		.amdhsa_exception_fp_ieee_overflow 0
		.amdhsa_exception_fp_ieee_underflow 0
		.amdhsa_exception_fp_ieee_inexact 0
		.amdhsa_exception_int_div_zero 0
	.end_amdhsa_kernel
	.section	.text._ZL25rocblas_symm_scale_kernelILi128ELi8EfPfEviiT1_T2_llli,"axG",@progbits,_ZL25rocblas_symm_scale_kernelILi128ELi8EfPfEviiT1_T2_llli,comdat
.Lfunc_end3:
	.size	_ZL25rocblas_symm_scale_kernelILi128ELi8EfPfEviiT1_T2_llli, .Lfunc_end3-_ZL25rocblas_symm_scale_kernelILi128ELi8EfPfEviiT1_T2_llli
                                        ; -- End function
	.section	.AMDGPU.csdata,"",@progbits
; Kernel info:
; codeLenInByte = 368
; NumSgprs: 24
; NumVgprs: 8
; NumAgprs: 0
; TotalNumVgprs: 8
; ScratchSize: 0
; MemoryBound: 0
; FloatMode: 240
; IeeeMode: 1
; LDSByteSize: 0 bytes/workgroup (compile time only)
; SGPRBlocks: 2
; VGPRBlocks: 0
; NumSGPRsForWavesPerEU: 24
; NumVGPRsForWavesPerEU: 8
; AccumOffset: 8
; Occupancy: 8
; WaveLimiterHint : 0
; COMPUTE_PGM_RSRC2:SCRATCH_EN: 0
; COMPUTE_PGM_RSRC2:USER_SGPR: 6
; COMPUTE_PGM_RSRC2:TRAP_HANDLER: 0
; COMPUTE_PGM_RSRC2:TGID_X_EN: 1
; COMPUTE_PGM_RSRC2:TGID_Y_EN: 1
; COMPUTE_PGM_RSRC2:TGID_Z_EN: 1
; COMPUTE_PGM_RSRC2:TIDIG_COMP_CNT: 1
; COMPUTE_PGM_RSRC3_GFX90A:ACCUM_OFFSET: 1
; COMPUTE_PGM_RSRC3_GFX90A:TG_SPLIT: 0
	.section	.text._ZL24rocblas_symm_hemm_kernelILb0ELb0ELi32EfPKfPfEvbiiT2_T3_lllS4_lllT4_llli,"axG",@progbits,_ZL24rocblas_symm_hemm_kernelILb0ELb0ELi32EfPKfPfEvbiiT2_T3_lllS4_lllT4_llli,comdat
	.globl	_ZL24rocblas_symm_hemm_kernelILb0ELb0ELi32EfPKfPfEvbiiT2_T3_lllS4_lllT4_llli ; -- Begin function _ZL24rocblas_symm_hemm_kernelILb0ELb0ELi32EfPKfPfEvbiiT2_T3_lllS4_lllT4_llli
	.p2align	8
	.type	_ZL24rocblas_symm_hemm_kernelILb0ELb0ELi32EfPKfPfEvbiiT2_T3_lllS4_lllT4_llli,@function
_ZL24rocblas_symm_hemm_kernelILb0ELb0ELi32EfPKfPfEvbiiT2_T3_lllS4_lllT4_llli: ; @_ZL24rocblas_symm_hemm_kernelILb0ELb0ELi32EfPKfPfEvbiiT2_T3_lllS4_lllT4_llli
; %bb.0:
	s_load_dwordx4 s[28:31], s[4:5], 0x0
	s_waitcnt lgkmcnt(0)
	v_cmp_eq_f32_e64 s[0:1], s31, 0
	s_and_b64 vcc, exec, s[0:1]
	s_cbranch_vccnz .LBB4_13
; %bb.1:
	s_add_i32 s0, s30, -1
	s_ashr_i32 s1, s0, 31
	s_lshr_b32 s1, s1, 27
	s_add_i32 s0, s0, s1
	s_ashr_i32 s33, s0, 5
	s_cmp_gt_i32 s7, s33
	s_cbranch_scc1 .LBB4_13
; %bb.2:
	s_load_dwordx16 s[12:27], s[4:5], 0x10
	s_load_dwordx8 s[36:43], s[4:5], 0x50
	v_and_b32_e32 v6, 0x3ff, v0
	v_lshl_add_u32 v2, s6, 5, v6
	v_bfe_u32 v7, v0, 10, 10
	s_waitcnt lgkmcnt(0)
	s_mul_i32 s1, s8, s19
	s_mul_hi_u32 s2, s8, s18
	s_mul_i32 s0, s8, s18
	s_add_i32 s1, s2, s1
	s_lshl_b64 s[0:1], s[0:1], 2
	s_add_u32 s2, s12, s0
	s_addc_u32 s9, s13, s1
	s_lshl_b64 s[0:1], s[14:15], 2
	s_mul_i32 s3, s8, s27
	s_add_u32 s14, s2, s0
	s_mul_hi_u32 s0, s8, s26
	s_addc_u32 s15, s9, s1
	s_add_i32 s1, s0, s3
	s_mul_i32 s0, s8, s26
	s_lshl_b64 s[0:1], s[0:1], 2
	s_add_u32 s2, s20, s0
	s_addc_u32 s3, s21, s1
	s_lshl_b64 s[0:1], s[22:23], 2
	s_add_u32 s18, s2, s0
	s_addc_u32 s19, s3, s1
	s_bitcmp1_b32 s28, 0
	s_mul_i32 s2, s8, s43
	s_mul_hi_u32 s3, s8, s42
	s_cselect_b64 s[0:1], -1, 0
	s_add_i32 s3, s3, s2
	s_mul_i32 s2, s8, s42
	s_lshl_b64 s[2:3], s[2:3], 2
	s_add_u32 s8, s36, s2
	s_addc_u32 s9, s37, s3
	s_lshl_b64 s[2:3], s[38:39], 2
	s_add_u32 s8, s8, s2
	s_addc_u32 s9, s9, s3
	s_load_dword s6, s[4:5], 0x7c
	s_cmp_gt_i32 s29, 0
	v_lshlrev_b32_e32 v0, 2, v7
	v_lshlrev_b32_e32 v8, 7, v6
	v_ashrrev_i32_e32 v3, 31, v2
	v_add_u32_e32 v9, v8, v0
	v_or_b32_e32 v10, 0x1000, v0
	v_lshlrev_b64 v[0:1], 2, v[2:3]
	s_cselect_b64 s[4:5], -1, 0
	v_mov_b32_e32 v4, s9
	v_add_co_u32_e32 v3, vcc, s8, v0
	v_cndmask_b32_e64 v0, 0, 1, s[4:5]
	v_add_u32_e32 v11, v10, v8
	v_cmp_gt_i32_e64 s[2:3], s29, v2
	v_addc_co_u32_e32 v12, vcc, v4, v1, vcc
	v_cmp_ne_u32_e64 s[4:5], 1, v0
	v_add_u32_e32 v13, 0x400, v10
	v_add_u32_e32 v14, 0x800, v10
	;; [unrolled: 1-line block ×3, first 2 shown]
	s_branch .LBB4_4
.LBB4_3:                                ;   in Loop: Header=BB4_4 Depth=1
	s_waitcnt lgkmcnt(0)
	s_add_i32 s7, s7, s6
	s_cmp_gt_i32 s7, s33
	s_cbranch_scc1 .LBB4_13
.LBB4_4:                                ; =>This Loop Header: Depth=1
                                        ;     Child Loop BB4_7 Depth 2
	s_and_b64 vcc, exec, s[4:5]
	s_cbranch_vccnz .LBB4_3
; %bb.5:                                ;   in Loop: Header=BB4_4 Depth=1
	v_lshl_add_u32 v4, s7, 5, v7
	v_ashrrev_i32_e32 v5, 31, v4
	v_mul_lo_u32 v16, v5, s24
	v_mul_lo_u32 v17, v4, s25
	v_mad_u64_u32 v[0:1], s[8:9], v4, s24, 0
	v_add3_u32 v1, v1, v17, v16
	v_lshlrev_b64 v[0:1], 2, v[0:1]
	v_mov_b32_e32 v17, s19
	v_add_co_u32_e64 v16, s[8:9], s18, v0
	v_addc_co_u32_e64 v17, s[8:9], v17, v1, s[8:9]
	v_mul_lo_u32 v5, v5, s40
	v_mul_lo_u32 v18, v4, s41
	v_mad_u64_u32 v[0:1], s[8:9], v4, s40, 0
	v_add3_u32 v1, v1, v18, v5
	v_lshlrev_b64 v[0:1], 2, v[0:1]
	v_cmp_gt_i32_e32 vcc, s30, v4
	v_add_co_u32_e64 v0, s[8:9], v3, v0
	s_and_b64 s[10:11], s[2:3], vcc
	v_addc_co_u32_e64 v1, s[8:9], v12, v1, s[8:9]
	s_mov_b32 s20, 0
	s_branch .LBB4_7
.LBB4_6:                                ;   in Loop: Header=BB4_7 Depth=2
	s_or_b64 exec, exec, s[8:9]
	s_add_i32 s20, s20, 32
	s_cmp_ge_i32 s20, s29
	s_barrier
	s_cbranch_scc1 .LBB4_3
.LBB4_7:                                ;   Parent Loop BB4_4 Depth=1
                                        ; =>  This Inner Loop Header: Depth=2
	v_add_u32_e32 v5, s20, v7
	v_cndmask_b32_e64 v4, v5, v2, s[0:1]
	v_cndmask_b32_e64 v18, v2, v5, s[0:1]
	v_cmp_gt_i32_e64 s[8:9], v4, v18
	v_cndmask_b32_e64 v4, v2, v5, s[8:9]
	v_cndmask_b32_e64 v5, v5, v2, s[8:9]
	v_max_i32_e32 v18, v4, v5
	v_cmp_gt_i32_e64 s[8:9], s29, v18
	v_mov_b32_e32 v18, 0
	v_mov_b32_e32 v19, 0
	s_and_saveexec_b64 s[12:13], s[8:9]
	s_cbranch_execz .LBB4_9
; %bb.8:                                ;   in Loop: Header=BB4_7 Depth=2
	v_ashrrev_i32_e32 v19, 31, v5
	v_mul_lo_u32 v22, v5, s17
	v_mul_lo_u32 v19, v19, s16
	v_mad_u64_u32 v[20:21], s[8:9], v5, s16, 0
	v_add3_u32 v21, v21, v22, v19
	v_lshlrev_b64 v[20:21], 2, v[20:21]
	v_ashrrev_i32_e32 v5, 31, v4
	v_mov_b32_e32 v19, s15
	v_add_co_u32_e64 v20, s[8:9], s14, v20
	v_addc_co_u32_e64 v19, s[8:9], v19, v21, s[8:9]
	v_lshlrev_b64 v[4:5], 2, v[4:5]
	v_add_co_u32_e64 v4, s[8:9], v20, v4
	v_addc_co_u32_e64 v5, s[8:9], v19, v5, s[8:9]
	global_load_dword v19, v[4:5], off
.LBB4_9:                                ;   in Loop: Header=BB4_7 Depth=2
	s_or_b64 exec, exec, s[12:13]
	v_add_u32_e32 v4, s20, v6
	v_cmp_gt_i32_e64 s[8:9], s29, v4
	s_and_b64 s[8:9], s[8:9], vcc
	s_waitcnt vmcnt(0)
	ds_write_b32 v9, v19
	s_and_saveexec_b64 s[12:13], s[8:9]
	s_cbranch_execz .LBB4_11
; %bb.10:                               ;   in Loop: Header=BB4_7 Depth=2
	v_ashrrev_i32_e32 v5, 31, v4
	v_lshlrev_b64 v[4:5], 2, v[4:5]
	v_add_co_u32_e64 v4, s[8:9], v16, v4
	v_addc_co_u32_e64 v5, s[8:9], v17, v5, s[8:9]
	global_load_dword v18, v[4:5], off
.LBB4_11:                               ;   in Loop: Header=BB4_7 Depth=2
	s_or_b64 exec, exec, s[12:13]
	s_waitcnt vmcnt(0)
	ds_write_b32 v11, v18
	s_waitcnt lgkmcnt(0)
	s_barrier
	s_and_saveexec_b64 s[8:9], s[10:11]
	s_cbranch_execz .LBB4_6
; %bb.12:                               ;   in Loop: Header=BB4_7 Depth=2
	global_load_dword v38, v[0:1], off
	ds_read2_b32 v[4:5], v10 offset1:32
	ds_read_b128 v[18:21], v8
	ds_read_b128 v[22:25], v8 offset:16
	ds_read2_b32 v[34:35], v10 offset0:64 offset1:96
	ds_read_b128 v[26:29], v8 offset:32
	ds_read_b128 v[30:33], v8 offset:48
	ds_read2_b32 v[36:37], v10 offset0:128 offset1:160
	s_waitcnt lgkmcnt(5)
	v_fma_f32 v39, v18, v4, 0
	v_fmac_f32_e32 v39, v19, v5
	ds_read2_b32 v[4:5], v10 offset0:192 offset1:224
	s_waitcnt lgkmcnt(4)
	v_fmac_f32_e32 v39, v20, v34
	v_fmac_f32_e32 v39, v21, v35
	ds_read2_b32 v[18:19], v13 offset1:32
	s_waitcnt lgkmcnt(2)
	v_fmac_f32_e32 v39, v22, v36
	v_fmac_f32_e32 v39, v23, v37
	ds_read2_b32 v[20:21], v13 offset0:64 offset1:96
	s_waitcnt lgkmcnt(2)
	v_fmac_f32_e32 v39, v24, v4
	v_fmac_f32_e32 v39, v25, v5
	ds_read2_b32 v[4:5], v13 offset0:128 offset1:160
	s_waitcnt lgkmcnt(2)
	v_fmac_f32_e32 v39, v26, v18
	v_fmac_f32_e32 v39, v27, v19
	s_waitcnt lgkmcnt(1)
	v_fmac_f32_e32 v39, v28, v20
	ds_read2_b32 v[22:23], v13 offset0:192 offset1:224
	v_fmac_f32_e32 v39, v29, v21
	s_waitcnt lgkmcnt(1)
	v_fmac_f32_e32 v39, v30, v4
	v_fmac_f32_e32 v39, v31, v5
	ds_read2_b32 v[4:5], v14 offset1:32
	ds_read_b128 v[18:21], v8 offset:64
	s_waitcnt lgkmcnt(2)
	v_fmac_f32_e32 v39, v32, v22
	v_fmac_f32_e32 v39, v33, v23
	ds_read2_b32 v[26:27], v14 offset0:64 offset1:96
	ds_read_b128 v[22:25], v8 offset:80
	ds_read2_b32 v[28:29], v14 offset0:128 offset1:160
	s_waitcnt lgkmcnt(3)
	v_fmac_f32_e32 v39, v18, v4
	v_fmac_f32_e32 v39, v19, v5
	ds_read2_b32 v[4:5], v14 offset0:192 offset1:224
	s_waitcnt lgkmcnt(3)
	v_fmac_f32_e32 v39, v20, v26
	v_fmac_f32_e32 v39, v21, v27
	ds_read2_b32 v[26:27], v15 offset1:32
	ds_read_b128 v[18:21], v8 offset:96
	s_waitcnt lgkmcnt(3)
	v_fmac_f32_e32 v39, v22, v28
	v_fmac_f32_e32 v39, v23, v29
	s_waitcnt lgkmcnt(2)
	v_pk_mul_f32 v[4:5], v[24:25], v[4:5]
	v_add_f32_e32 v4, v39, v4
	v_add_f32_e32 v28, v4, v5
	ds_read2_b32 v[4:5], v15 offset0:64 offset1:96
	ds_read_b128 v[22:25], v8 offset:112
	s_waitcnt lgkmcnt(2)
	v_pk_mul_f32 v[18:19], v[18:19], v[26:27]
	v_add_f32_e32 v18, v28, v18
	v_add_f32_e32 v26, v18, v19
	ds_read2_b32 v[18:19], v15 offset0:128 offset1:160
	s_waitcnt lgkmcnt(2)
	v_pk_mul_f32 v[4:5], v[20:21], v[4:5]
	ds_read2_b32 v[20:21], v15 offset0:192 offset1:224
	v_add_f32_e32 v4, v26, v4
	v_add_f32_e32 v26, v4, v5
	s_waitcnt lgkmcnt(1)
	v_pk_mul_f32 v[4:5], v[22:23], v[18:19]
	v_add_f32_e32 v4, v26, v4
	v_add_f32_e32 v18, v4, v5
	s_waitcnt lgkmcnt(0)
	v_pk_mul_f32 v[4:5], v[24:25], v[20:21]
	v_add_f32_e32 v4, v18, v4
	v_add_f32_e32 v4, v4, v5
	s_waitcnt vmcnt(0)
	v_fmac_f32_e32 v38, s31, v4
	global_store_dword v[0:1], v38, off
	s_branch .LBB4_6
.LBB4_13:
	s_endpgm
	.section	.rodata,"a",@progbits
	.p2align	6, 0x0
	.amdhsa_kernel _ZL24rocblas_symm_hemm_kernelILb0ELb0ELi32EfPKfPfEvbiiT2_T3_lllS4_lllT4_llli
		.amdhsa_group_segment_fixed_size 8192
		.amdhsa_private_segment_fixed_size 0
		.amdhsa_kernarg_size 376
		.amdhsa_user_sgpr_count 6
		.amdhsa_user_sgpr_private_segment_buffer 1
		.amdhsa_user_sgpr_dispatch_ptr 0
		.amdhsa_user_sgpr_queue_ptr 0
		.amdhsa_user_sgpr_kernarg_segment_ptr 1
		.amdhsa_user_sgpr_dispatch_id 0
		.amdhsa_user_sgpr_flat_scratch_init 0
		.amdhsa_user_sgpr_kernarg_preload_length 0
		.amdhsa_user_sgpr_kernarg_preload_offset 0
		.amdhsa_user_sgpr_private_segment_size 0
		.amdhsa_uses_dynamic_stack 0
		.amdhsa_system_sgpr_private_segment_wavefront_offset 0
		.amdhsa_system_sgpr_workgroup_id_x 1
		.amdhsa_system_sgpr_workgroup_id_y 1
		.amdhsa_system_sgpr_workgroup_id_z 1
		.amdhsa_system_sgpr_workgroup_info 0
		.amdhsa_system_vgpr_workitem_id 1
		.amdhsa_next_free_vgpr 40
		.amdhsa_next_free_sgpr 44
		.amdhsa_accum_offset 40
		.amdhsa_reserve_vcc 1
		.amdhsa_reserve_flat_scratch 0
		.amdhsa_float_round_mode_32 0
		.amdhsa_float_round_mode_16_64 0
		.amdhsa_float_denorm_mode_32 3
		.amdhsa_float_denorm_mode_16_64 3
		.amdhsa_dx10_clamp 1
		.amdhsa_ieee_mode 1
		.amdhsa_fp16_overflow 0
		.amdhsa_tg_split 0
		.amdhsa_exception_fp_ieee_invalid_op 0
		.amdhsa_exception_fp_denorm_src 0
		.amdhsa_exception_fp_ieee_div_zero 0
		.amdhsa_exception_fp_ieee_overflow 0
		.amdhsa_exception_fp_ieee_underflow 0
		.amdhsa_exception_fp_ieee_inexact 0
		.amdhsa_exception_int_div_zero 0
	.end_amdhsa_kernel
	.section	.text._ZL24rocblas_symm_hemm_kernelILb0ELb0ELi32EfPKfPfEvbiiT2_T3_lllS4_lllT4_llli,"axG",@progbits,_ZL24rocblas_symm_hemm_kernelILb0ELb0ELi32EfPKfPfEvbiiT2_T3_lllS4_lllT4_llli,comdat
.Lfunc_end4:
	.size	_ZL24rocblas_symm_hemm_kernelILb0ELb0ELi32EfPKfPfEvbiiT2_T3_lllS4_lllT4_llli, .Lfunc_end4-_ZL24rocblas_symm_hemm_kernelILb0ELb0ELi32EfPKfPfEvbiiT2_T3_lllS4_lllT4_llli
                                        ; -- End function
	.section	.AMDGPU.csdata,"",@progbits
; Kernel info:
; codeLenInByte = 1272
; NumSgprs: 48
; NumVgprs: 40
; NumAgprs: 0
; TotalNumVgprs: 40
; ScratchSize: 0
; MemoryBound: 0
; FloatMode: 240
; IeeeMode: 1
; LDSByteSize: 8192 bytes/workgroup (compile time only)
; SGPRBlocks: 5
; VGPRBlocks: 4
; NumSGPRsForWavesPerEU: 48
; NumVGPRsForWavesPerEU: 40
; AccumOffset: 40
; Occupancy: 8
; WaveLimiterHint : 0
; COMPUTE_PGM_RSRC2:SCRATCH_EN: 0
; COMPUTE_PGM_RSRC2:USER_SGPR: 6
; COMPUTE_PGM_RSRC2:TRAP_HANDLER: 0
; COMPUTE_PGM_RSRC2:TGID_X_EN: 1
; COMPUTE_PGM_RSRC2:TGID_Y_EN: 1
; COMPUTE_PGM_RSRC2:TGID_Z_EN: 1
; COMPUTE_PGM_RSRC2:TIDIG_COMP_CNT: 1
; COMPUTE_PGM_RSRC3_GFX90A:ACCUM_OFFSET: 9
; COMPUTE_PGM_RSRC3_GFX90A:TG_SPLIT: 0
	.section	.text._ZL24rocblas_symm_hemm_kernelILb0ELb1ELi32EfPKfPfEvbiiT2_T3_lllS4_lllT4_llli,"axG",@progbits,_ZL24rocblas_symm_hemm_kernelILb0ELb1ELi32EfPKfPfEvbiiT2_T3_lllS4_lllT4_llli,comdat
	.globl	_ZL24rocblas_symm_hemm_kernelILb0ELb1ELi32EfPKfPfEvbiiT2_T3_lllS4_lllT4_llli ; -- Begin function _ZL24rocblas_symm_hemm_kernelILb0ELb1ELi32EfPKfPfEvbiiT2_T3_lllS4_lllT4_llli
	.p2align	8
	.type	_ZL24rocblas_symm_hemm_kernelILb0ELb1ELi32EfPKfPfEvbiiT2_T3_lllS4_lllT4_llli,@function
_ZL24rocblas_symm_hemm_kernelILb0ELb1ELi32EfPKfPfEvbiiT2_T3_lllS4_lllT4_llli: ; @_ZL24rocblas_symm_hemm_kernelILb0ELb1ELi32EfPKfPfEvbiiT2_T3_lllS4_lllT4_llli
; %bb.0:
	s_load_dwordx4 s[28:31], s[4:5], 0x0
	s_waitcnt lgkmcnt(0)
	v_cmp_eq_f32_e64 s[0:1], s31, 0
	s_and_b64 vcc, exec, s[0:1]
	s_cbranch_vccnz .LBB5_13
; %bb.1:
	s_add_i32 s0, s30, -1
	s_ashr_i32 s1, s0, 31
	s_lshr_b32 s1, s1, 27
	s_add_i32 s0, s0, s1
	s_ashr_i32 s33, s0, 5
	s_cmp_gt_i32 s7, s33
	s_cbranch_scc1 .LBB5_13
; %bb.2:
	s_load_dwordx16 s[12:27], s[4:5], 0x10
	s_load_dwordx8 s[36:43], s[4:5], 0x50
	v_and_b32_e32 v4, 0x3ff, v0
	v_lshl_add_u32 v2, s6, 5, v4
	v_ashrrev_i32_e32 v3, 31, v2
	s_waitcnt lgkmcnt(0)
	s_mul_i32 s1, s8, s19
	s_mul_hi_u32 s2, s8, s18
	s_mul_i32 s0, s8, s18
	s_add_i32 s1, s2, s1
	s_lshl_b64 s[0:1], s[0:1], 2
	s_add_u32 s2, s12, s0
	s_addc_u32 s3, s13, s1
	s_lshl_b64 s[0:1], s[14:15], 2
	s_add_u32 s12, s2, s0
	s_addc_u32 s13, s3, s1
	s_bitcmp1_b32 s28, 0
	s_mul_i32 s2, s8, s43
	s_mul_hi_u32 s3, s8, s42
	s_cselect_b64 s[0:1], -1, 0
	s_add_i32 s3, s3, s2
	s_mul_i32 s2, s8, s42
	s_lshl_b64 s[2:3], s[2:3], 2
	s_add_u32 s9, s36, s2
	s_addc_u32 s10, s37, s3
	s_lshl_b64 s[2:3], s[38:39], 2
	s_add_u32 s9, s9, s2
	s_addc_u32 s10, s10, s3
	s_mul_i32 s2, s8, s27
	s_mul_hi_u32 s3, s8, s26
	s_add_i32 s3, s3, s2
	s_mul_i32 s2, s8, s26
	s_lshl_b64 s[2:3], s[2:3], 2
	s_add_u32 s8, s20, s2
	s_addc_u32 s11, s21, s3
	s_lshl_b64 s[2:3], s[22:23], 2
	s_add_u32 s8, s8, s2
	s_addc_u32 s11, s11, s3
	v_bfe_u32 v5, v0, 10, 10
	v_lshlrev_b64 v[0:1], 2, v[2:3]
	s_load_dword s6, s[4:5], 0x7c
	s_cmp_gt_i32 s30, 0
	v_cmp_gt_i32_e64 s[2:3], s29, v2
	v_mov_b32_e32 v2, s11
	v_add_co_u32_e32 v6, vcc, s8, v0
	v_addc_co_u32_e32 v7, vcc, v2, v1, vcc
	v_lshlrev_b32_e32 v2, 2, v5
	v_lshlrev_b32_e32 v8, 7, v4
	s_cselect_b64 s[4:5], -1, 0
	v_add_u32_e32 v9, v8, v2
	v_or_b32_e32 v10, 0x1000, v2
	v_mov_b32_e32 v2, s10
	v_add_co_u32_e32 v12, vcc, s9, v0
	v_cndmask_b32_e64 v0, 0, 1, s[4:5]
	v_add_u32_e32 v11, v10, v8
	v_addc_co_u32_e32 v13, vcc, v2, v1, vcc
	v_cmp_ne_u32_e64 s[4:5], 1, v0
	v_add_u32_e32 v14, 0x400, v10
	v_add_u32_e32 v15, 0x800, v10
	;; [unrolled: 1-line block ×3, first 2 shown]
	s_branch .LBB5_4
.LBB5_3:                                ;   in Loop: Header=BB5_4 Depth=1
	s_waitcnt lgkmcnt(0)
	s_add_i32 s7, s7, s6
	s_cmp_gt_i32 s7, s33
	s_cbranch_scc1 .LBB5_13
.LBB5_4:                                ; =>This Loop Header: Depth=1
                                        ;     Child Loop BB5_7 Depth 2
	s_and_b64 vcc, exec, s[4:5]
	s_cbranch_vccnz .LBB5_3
; %bb.5:                                ;   in Loop: Header=BB5_4 Depth=1
	v_lshl_add_u32 v17, s7, 5, v5
	v_ashrrev_i32_e32 v0, 31, v17
	v_mul_lo_u32 v2, v0, s40
	v_mul_lo_u32 v3, v17, s41
	v_mad_u64_u32 v[0:1], s[10:11], v17, s40, 0
	v_add3_u32 v1, v1, v3, v2
	v_cmp_gt_i32_e32 vcc, s30, v17
	v_lshlrev_b64 v[0:1], 2, v[0:1]
	s_and_b64 s[8:9], s[2:3], vcc
	v_add_co_u32_e32 v0, vcc, v12, v0
	v_addc_co_u32_e32 v1, vcc, v13, v1, vcc
	s_mov_b32 s14, 0
	s_branch .LBB5_7
.LBB5_6:                                ;   in Loop: Header=BB5_7 Depth=2
	s_or_b64 exec, exec, s[10:11]
	s_add_i32 s14, s14, 32
	s_cmp_ge_i32 s14, s30
	s_barrier
	s_cbranch_scc1 .LBB5_3
.LBB5_7:                                ;   Parent Loop BB5_4 Depth=1
                                        ; =>  This Inner Loop Header: Depth=2
	v_add_u32_e32 v2, s14, v5
	v_cmp_gt_i32_e32 vcc, s30, v2
	s_and_b64 s[18:19], s[2:3], vcc
	v_mov_b32_e32 v3, 0
	v_mov_b32_e32 v18, 0
	s_and_saveexec_b64 s[10:11], s[18:19]
	s_cbranch_execz .LBB5_9
; %bb.8:                                ;   in Loop: Header=BB5_7 Depth=2
	v_ashrrev_i32_e32 v18, 31, v2
	v_mul_lo_u32 v20, v2, s25
	v_mul_lo_u32 v21, v18, s24
	v_mad_u64_u32 v[18:19], s[18:19], v2, s24, 0
	v_add3_u32 v19, v19, v20, v21
	v_lshlrev_b64 v[18:19], 2, v[18:19]
	v_add_co_u32_e32 v18, vcc, v6, v18
	v_addc_co_u32_e32 v19, vcc, v7, v19, vcc
	global_load_dword v18, v[18:19], off
.LBB5_9:                                ;   in Loop: Header=BB5_7 Depth=2
	s_or_b64 exec, exec, s[10:11]
	s_waitcnt vmcnt(0)
	ds_write_b32 v9, v18
	v_add_u32_e32 v18, s14, v4
	v_cndmask_b32_e64 v2, v17, v18, s[0:1]
	v_cndmask_b32_e64 v19, v18, v17, s[0:1]
	v_cmp_gt_i32_e32 vcc, v2, v19
	v_cndmask_b32_e32 v2, v18, v17, vcc
	v_cndmask_b32_e32 v18, v17, v18, vcc
	v_max_i32_e32 v19, v2, v18
	v_cmp_gt_i32_e32 vcc, s30, v19
	s_and_saveexec_b64 s[10:11], vcc
	s_cbranch_execz .LBB5_11
; %bb.10:                               ;   in Loop: Header=BB5_7 Depth=2
	v_ashrrev_i32_e32 v3, 31, v18
	v_mul_lo_u32 v20, v18, s17
	v_mul_lo_u32 v3, v3, s16
	v_mad_u64_u32 v[18:19], s[18:19], v18, s16, 0
	v_add3_u32 v19, v19, v20, v3
	v_lshlrev_b64 v[18:19], 2, v[18:19]
	v_ashrrev_i32_e32 v3, 31, v2
	v_mov_b32_e32 v20, s13
	v_add_co_u32_e32 v18, vcc, s12, v18
	v_addc_co_u32_e32 v19, vcc, v20, v19, vcc
	v_lshlrev_b64 v[2:3], 2, v[2:3]
	v_add_co_u32_e32 v2, vcc, v18, v2
	v_addc_co_u32_e32 v3, vcc, v19, v3, vcc
	global_load_dword v3, v[2:3], off
.LBB5_11:                               ;   in Loop: Header=BB5_7 Depth=2
	s_or_b64 exec, exec, s[10:11]
	s_waitcnt vmcnt(0)
	ds_write_b32 v11, v3
	s_waitcnt lgkmcnt(0)
	s_barrier
	s_and_saveexec_b64 s[10:11], s[8:9]
	s_cbranch_execz .LBB5_6
; %bb.12:                               ;   in Loop: Header=BB5_7 Depth=2
	global_load_dword v38, v[0:1], off
	ds_read2_b32 v[2:3], v10 offset1:32
	ds_read_b128 v[18:21], v8
	ds_read_b128 v[22:25], v8 offset:16
	ds_read2_b32 v[34:35], v10 offset0:64 offset1:96
	ds_read_b128 v[26:29], v8 offset:32
	ds_read_b128 v[30:33], v8 offset:48
	ds_read2_b32 v[36:37], v10 offset0:128 offset1:160
	s_waitcnt lgkmcnt(5)
	v_fma_f32 v39, v18, v2, 0
	v_fmac_f32_e32 v39, v19, v3
	ds_read2_b32 v[2:3], v10 offset0:192 offset1:224
	s_waitcnt lgkmcnt(4)
	v_fmac_f32_e32 v39, v20, v34
	v_fmac_f32_e32 v39, v21, v35
	ds_read2_b32 v[18:19], v14 offset1:32
	s_waitcnt lgkmcnt(2)
	v_fmac_f32_e32 v39, v22, v36
	v_fmac_f32_e32 v39, v23, v37
	ds_read2_b32 v[20:21], v14 offset0:64 offset1:96
	s_waitcnt lgkmcnt(2)
	v_fmac_f32_e32 v39, v24, v2
	v_fmac_f32_e32 v39, v25, v3
	ds_read2_b32 v[2:3], v14 offset0:128 offset1:160
	s_waitcnt lgkmcnt(2)
	v_fmac_f32_e32 v39, v26, v18
	v_fmac_f32_e32 v39, v27, v19
	s_waitcnt lgkmcnt(1)
	v_fmac_f32_e32 v39, v28, v20
	ds_read2_b32 v[22:23], v14 offset0:192 offset1:224
	v_fmac_f32_e32 v39, v29, v21
	s_waitcnt lgkmcnt(1)
	v_fmac_f32_e32 v39, v30, v2
	v_fmac_f32_e32 v39, v31, v3
	ds_read2_b32 v[2:3], v15 offset1:32
	ds_read_b128 v[18:21], v8 offset:64
	s_waitcnt lgkmcnt(2)
	v_fmac_f32_e32 v39, v32, v22
	v_fmac_f32_e32 v39, v33, v23
	ds_read2_b32 v[26:27], v15 offset0:64 offset1:96
	ds_read_b128 v[22:25], v8 offset:80
	ds_read2_b32 v[28:29], v15 offset0:128 offset1:160
	s_waitcnt lgkmcnt(3)
	v_fmac_f32_e32 v39, v18, v2
	v_fmac_f32_e32 v39, v19, v3
	ds_read2_b32 v[2:3], v15 offset0:192 offset1:224
	s_waitcnt lgkmcnt(3)
	v_fmac_f32_e32 v39, v20, v26
	v_fmac_f32_e32 v39, v21, v27
	ds_read2_b32 v[26:27], v16 offset1:32
	ds_read_b128 v[18:21], v8 offset:96
	s_waitcnt lgkmcnt(3)
	v_fmac_f32_e32 v39, v22, v28
	v_fmac_f32_e32 v39, v23, v29
	s_waitcnt lgkmcnt(2)
	v_pk_mul_f32 v[2:3], v[24:25], v[2:3]
	v_add_f32_e32 v2, v39, v2
	v_add_f32_e32 v28, v2, v3
	ds_read2_b32 v[2:3], v16 offset0:64 offset1:96
	ds_read_b128 v[22:25], v8 offset:112
	s_waitcnt lgkmcnt(2)
	v_pk_mul_f32 v[18:19], v[18:19], v[26:27]
	v_add_f32_e32 v18, v28, v18
	v_add_f32_e32 v26, v18, v19
	ds_read2_b32 v[18:19], v16 offset0:128 offset1:160
	s_waitcnt lgkmcnt(2)
	v_pk_mul_f32 v[2:3], v[20:21], v[2:3]
	ds_read2_b32 v[20:21], v16 offset0:192 offset1:224
	v_add_f32_e32 v2, v26, v2
	v_add_f32_e32 v26, v2, v3
	s_waitcnt lgkmcnt(1)
	v_pk_mul_f32 v[2:3], v[22:23], v[18:19]
	v_add_f32_e32 v2, v26, v2
	v_add_f32_e32 v18, v2, v3
	s_waitcnt lgkmcnt(0)
	v_pk_mul_f32 v[2:3], v[24:25], v[20:21]
	v_add_f32_e32 v2, v18, v2
	v_add_f32_e32 v2, v2, v3
	s_waitcnt vmcnt(0)
	v_fmac_f32_e32 v38, s31, v2
	global_store_dword v[0:1], v38, off
	s_branch .LBB5_6
.LBB5_13:
	s_endpgm
	.section	.rodata,"a",@progbits
	.p2align	6, 0x0
	.amdhsa_kernel _ZL24rocblas_symm_hemm_kernelILb0ELb1ELi32EfPKfPfEvbiiT2_T3_lllS4_lllT4_llli
		.amdhsa_group_segment_fixed_size 8192
		.amdhsa_private_segment_fixed_size 0
		.amdhsa_kernarg_size 376
		.amdhsa_user_sgpr_count 6
		.amdhsa_user_sgpr_private_segment_buffer 1
		.amdhsa_user_sgpr_dispatch_ptr 0
		.amdhsa_user_sgpr_queue_ptr 0
		.amdhsa_user_sgpr_kernarg_segment_ptr 1
		.amdhsa_user_sgpr_dispatch_id 0
		.amdhsa_user_sgpr_flat_scratch_init 0
		.amdhsa_user_sgpr_kernarg_preload_length 0
		.amdhsa_user_sgpr_kernarg_preload_offset 0
		.amdhsa_user_sgpr_private_segment_size 0
		.amdhsa_uses_dynamic_stack 0
		.amdhsa_system_sgpr_private_segment_wavefront_offset 0
		.amdhsa_system_sgpr_workgroup_id_x 1
		.amdhsa_system_sgpr_workgroup_id_y 1
		.amdhsa_system_sgpr_workgroup_id_z 1
		.amdhsa_system_sgpr_workgroup_info 0
		.amdhsa_system_vgpr_workitem_id 1
		.amdhsa_next_free_vgpr 40
		.amdhsa_next_free_sgpr 44
		.amdhsa_accum_offset 40
		.amdhsa_reserve_vcc 1
		.amdhsa_reserve_flat_scratch 0
		.amdhsa_float_round_mode_32 0
		.amdhsa_float_round_mode_16_64 0
		.amdhsa_float_denorm_mode_32 3
		.amdhsa_float_denorm_mode_16_64 3
		.amdhsa_dx10_clamp 1
		.amdhsa_ieee_mode 1
		.amdhsa_fp16_overflow 0
		.amdhsa_tg_split 0
		.amdhsa_exception_fp_ieee_invalid_op 0
		.amdhsa_exception_fp_denorm_src 0
		.amdhsa_exception_fp_ieee_div_zero 0
		.amdhsa_exception_fp_ieee_overflow 0
		.amdhsa_exception_fp_ieee_underflow 0
		.amdhsa_exception_fp_ieee_inexact 0
		.amdhsa_exception_int_div_zero 0
	.end_amdhsa_kernel
	.section	.text._ZL24rocblas_symm_hemm_kernelILb0ELb1ELi32EfPKfPfEvbiiT2_T3_lllS4_lllT4_llli,"axG",@progbits,_ZL24rocblas_symm_hemm_kernelILb0ELb1ELi32EfPKfPfEvbiiT2_T3_lllS4_lllT4_llli,comdat
.Lfunc_end5:
	.size	_ZL24rocblas_symm_hemm_kernelILb0ELb1ELi32EfPKfPfEvbiiT2_T3_lllS4_lllT4_llli, .Lfunc_end5-_ZL24rocblas_symm_hemm_kernelILb0ELb1ELi32EfPKfPfEvbiiT2_T3_lllS4_lllT4_llli
                                        ; -- End function
	.section	.AMDGPU.csdata,"",@progbits
; Kernel info:
; codeLenInByte = 1204
; NumSgprs: 48
; NumVgprs: 40
; NumAgprs: 0
; TotalNumVgprs: 40
; ScratchSize: 0
; MemoryBound: 0
; FloatMode: 240
; IeeeMode: 1
; LDSByteSize: 8192 bytes/workgroup (compile time only)
; SGPRBlocks: 5
; VGPRBlocks: 4
; NumSGPRsForWavesPerEU: 48
; NumVGPRsForWavesPerEU: 40
; AccumOffset: 40
; Occupancy: 8
; WaveLimiterHint : 0
; COMPUTE_PGM_RSRC2:SCRATCH_EN: 0
; COMPUTE_PGM_RSRC2:USER_SGPR: 6
; COMPUTE_PGM_RSRC2:TRAP_HANDLER: 0
; COMPUTE_PGM_RSRC2:TGID_X_EN: 1
; COMPUTE_PGM_RSRC2:TGID_Y_EN: 1
; COMPUTE_PGM_RSRC2:TGID_Z_EN: 1
; COMPUTE_PGM_RSRC2:TIDIG_COMP_CNT: 1
; COMPUTE_PGM_RSRC3_GFX90A:ACCUM_OFFSET: 9
; COMPUTE_PGM_RSRC3_GFX90A:TG_SPLIT: 0
	.section	.text._ZL25rocblas_symm_scale_kernelILi128ELi8EPKdPdEviiT1_T2_llli,"axG",@progbits,_ZL25rocblas_symm_scale_kernelILi128ELi8EPKdPdEviiT1_T2_llli,comdat
	.globl	_ZL25rocblas_symm_scale_kernelILi128ELi8EPKdPdEviiT1_T2_llli ; -- Begin function _ZL25rocblas_symm_scale_kernelILi128ELi8EPKdPdEviiT1_T2_llli
	.p2align	8
	.type	_ZL25rocblas_symm_scale_kernelILi128ELi8EPKdPdEviiT1_T2_llli,@function
_ZL25rocblas_symm_scale_kernelILi128ELi8EPKdPdEviiT1_T2_llli: ; @_ZL25rocblas_symm_scale_kernelILi128ELi8EPKdPdEviiT1_T2_llli
; %bb.0:
	s_load_dwordx8 s[12:19], s[4:5], 0x8
	s_waitcnt lgkmcnt(0)
	s_load_dwordx2 s[2:3], s[12:13], 0x0
	s_waitcnt lgkmcnt(0)
	v_cmp_eq_f64_e64 s[0:1], s[2:3], 1.0
	s_and_b64 vcc, exec, s[0:1]
	s_cbranch_vccnz .LBB6_7
; %bb.1:
	s_load_dwordx2 s[0:1], s[4:5], 0x0
	v_and_b32_e32 v1, 0x3ff, v0
	v_bfe_u32 v0, v0, 10, 10
	v_lshl_add_u32 v2, s6, 7, v1
	v_lshl_add_u32 v0, s7, 3, v0
	v_mov_b32_e32 v1, 0
	s_waitcnt lgkmcnt(0)
	s_ashr_i32 s7, s1, 31
	s_mov_b32 s6, s1
	v_cmp_gt_u32_e32 vcc, s0, v2
	v_cmp_gt_i64_e64 s[0:1], s[6:7], v[0:1]
	s_and_b64 s[0:1], vcc, s[0:1]
	s_and_saveexec_b64 s[10:11], s[0:1]
	s_cbranch_execz .LBB6_7
; %bb.2:
	s_load_dword s9, s[4:5], 0x3c
	s_load_dwordx2 s[0:1], s[4:5], 0x28
	v_mov_b32_e32 v3, v1
	v_lshlrev_b64 v[2:3], 3, v[2:3]
	s_mov_b32 s11, 0
	s_waitcnt lgkmcnt(0)
	s_lshl_b32 s10, s9, 3
	s_mul_i32 s1, s1, s8
	s_mul_hi_u32 s9, s0, s8
	s_add_i32 s1, s9, s1
	s_mul_i32 s0, s0, s8
	v_mad_u64_u32 v[4:5], s[8:9], s18, v0, 0
	v_mov_b32_e32 v6, v5
	v_mad_u64_u32 v[6:7], s[8:9], s19, v0, v[6:7]
	s_lshl_b64 s[0:1], s[0:1], 3
	s_lshl_b64 s[8:9], s[16:17], 3
	v_mov_b32_e32 v5, v6
	s_add_u32 s0, s8, s0
	v_lshlrev_b64 v[4:5], 3, v[4:5]
	s_addc_u32 s1, s9, s1
	v_mov_b32_e32 v6, s1
	v_add_co_u32_e32 v4, vcc, s0, v4
	v_addc_co_u32_e32 v5, vcc, v6, v5, vcc
	v_add_co_u32_e32 v2, vcc, v4, v2
	s_mul_i32 s0, s19, s10
	s_mul_hi_u32 s1, s18, s10
	v_addc_co_u32_e32 v3, vcc, v5, v3, vcc
	s_add_i32 s1, s1, s0
	s_mul_i32 s0, s18, s10
	v_mov_b32_e32 v4, s15
	v_add_co_u32_e32 v2, vcc, s14, v2
	s_lshl_b64 s[8:9], s[0:1], 3
	v_cmp_neq_f64_e64 s[0:1], s[2:3], 0
	v_addc_co_u32_e32 v3, vcc, v4, v3, vcc
	v_cndmask_b32_e64 v4, 0, 1, s[0:1]
	s_mov_b64 s[4:5], 0
	v_cmp_ne_u32_e64 s[0:1], 1, v4
	v_mov_b32_e32 v6, s11
	v_mov_b32_e32 v7, s9
	s_branch .LBB6_5
.LBB6_3:                                ;   in Loop: Header=BB6_5 Depth=1
	global_load_dwordx2 v[4:5], v[2:3], off
	s_waitcnt vmcnt(0)
	v_mul_f64 v[4:5], s[2:3], v[4:5]
.LBB6_4:                                ;   in Loop: Header=BB6_5 Depth=1
	v_add_co_u32_e32 v0, vcc, s10, v0
	v_addc_co_u32_e32 v1, vcc, v1, v6, vcc
	v_cmp_le_i64_e32 vcc, s[6:7], v[0:1]
	global_store_dwordx2 v[2:3], v[4:5], off
	s_or_b64 s[4:5], vcc, s[4:5]
	v_add_co_u32_e32 v2, vcc, s8, v2
	v_addc_co_u32_e32 v3, vcc, v3, v7, vcc
	s_andn2_b64 exec, exec, s[4:5]
	s_cbranch_execz .LBB6_7
.LBB6_5:                                ; =>This Inner Loop Header: Depth=1
	s_and_b64 vcc, exec, s[0:1]
	s_cbranch_vccz .LBB6_3
; %bb.6:                                ;   in Loop: Header=BB6_5 Depth=1
	v_pk_mov_b32 v[4:5], 0, 0
	s_branch .LBB6_4
.LBB6_7:
	s_endpgm
	.section	.rodata,"a",@progbits
	.p2align	6, 0x0
	.amdhsa_kernel _ZL25rocblas_symm_scale_kernelILi128ELi8EPKdPdEviiT1_T2_llli
		.amdhsa_group_segment_fixed_size 0
		.amdhsa_private_segment_fixed_size 0
		.amdhsa_kernarg_size 312
		.amdhsa_user_sgpr_count 6
		.amdhsa_user_sgpr_private_segment_buffer 1
		.amdhsa_user_sgpr_dispatch_ptr 0
		.amdhsa_user_sgpr_queue_ptr 0
		.amdhsa_user_sgpr_kernarg_segment_ptr 1
		.amdhsa_user_sgpr_dispatch_id 0
		.amdhsa_user_sgpr_flat_scratch_init 0
		.amdhsa_user_sgpr_kernarg_preload_length 0
		.amdhsa_user_sgpr_kernarg_preload_offset 0
		.amdhsa_user_sgpr_private_segment_size 0
		.amdhsa_uses_dynamic_stack 0
		.amdhsa_system_sgpr_private_segment_wavefront_offset 0
		.amdhsa_system_sgpr_workgroup_id_x 1
		.amdhsa_system_sgpr_workgroup_id_y 1
		.amdhsa_system_sgpr_workgroup_id_z 1
		.amdhsa_system_sgpr_workgroup_info 0
		.amdhsa_system_vgpr_workitem_id 1
		.amdhsa_next_free_vgpr 8
		.amdhsa_next_free_sgpr 20
		.amdhsa_accum_offset 8
		.amdhsa_reserve_vcc 1
		.amdhsa_reserve_flat_scratch 0
		.amdhsa_float_round_mode_32 0
		.amdhsa_float_round_mode_16_64 0
		.amdhsa_float_denorm_mode_32 3
		.amdhsa_float_denorm_mode_16_64 3
		.amdhsa_dx10_clamp 1
		.amdhsa_ieee_mode 1
		.amdhsa_fp16_overflow 0
		.amdhsa_tg_split 0
		.amdhsa_exception_fp_ieee_invalid_op 0
		.amdhsa_exception_fp_denorm_src 0
		.amdhsa_exception_fp_ieee_div_zero 0
		.amdhsa_exception_fp_ieee_overflow 0
		.amdhsa_exception_fp_ieee_underflow 0
		.amdhsa_exception_fp_ieee_inexact 0
		.amdhsa_exception_int_div_zero 0
	.end_amdhsa_kernel
	.section	.text._ZL25rocblas_symm_scale_kernelILi128ELi8EPKdPdEviiT1_T2_llli,"axG",@progbits,_ZL25rocblas_symm_scale_kernelILi128ELi8EPKdPdEviiT1_T2_llli,comdat
.Lfunc_end6:
	.size	_ZL25rocblas_symm_scale_kernelILi128ELi8EPKdPdEviiT1_T2_llli, .Lfunc_end6-_ZL25rocblas_symm_scale_kernelILi128ELi8EPKdPdEviiT1_T2_llli
                                        ; -- End function
	.section	.AMDGPU.csdata,"",@progbits
; Kernel info:
; codeLenInByte = 400
; NumSgprs: 24
; NumVgprs: 8
; NumAgprs: 0
; TotalNumVgprs: 8
; ScratchSize: 0
; MemoryBound: 1
; FloatMode: 240
; IeeeMode: 1
; LDSByteSize: 0 bytes/workgroup (compile time only)
; SGPRBlocks: 2
; VGPRBlocks: 0
; NumSGPRsForWavesPerEU: 24
; NumVGPRsForWavesPerEU: 8
; AccumOffset: 8
; Occupancy: 8
; WaveLimiterHint : 0
; COMPUTE_PGM_RSRC2:SCRATCH_EN: 0
; COMPUTE_PGM_RSRC2:USER_SGPR: 6
; COMPUTE_PGM_RSRC2:TRAP_HANDLER: 0
; COMPUTE_PGM_RSRC2:TGID_X_EN: 1
; COMPUTE_PGM_RSRC2:TGID_Y_EN: 1
; COMPUTE_PGM_RSRC2:TGID_Z_EN: 1
; COMPUTE_PGM_RSRC2:TIDIG_COMP_CNT: 1
; COMPUTE_PGM_RSRC3_GFX90A:ACCUM_OFFSET: 1
; COMPUTE_PGM_RSRC3_GFX90A:TG_SPLIT: 0
	.section	.text._ZL24rocblas_symm_hemm_kernelILb0ELb0ELi32EPKdS1_PdEvbiiT2_T3_lllS4_lllT4_llli,"axG",@progbits,_ZL24rocblas_symm_hemm_kernelILb0ELb0ELi32EPKdS1_PdEvbiiT2_T3_lllS4_lllT4_llli,comdat
	.globl	_ZL24rocblas_symm_hemm_kernelILb0ELb0ELi32EPKdS1_PdEvbiiT2_T3_lllS4_lllT4_llli ; -- Begin function _ZL24rocblas_symm_hemm_kernelILb0ELb0ELi32EPKdS1_PdEvbiiT2_T3_lllS4_lllT4_llli
	.p2align	8
	.type	_ZL24rocblas_symm_hemm_kernelILb0ELb0ELi32EPKdS1_PdEvbiiT2_T3_lllS4_lllT4_llli,@function
_ZL24rocblas_symm_hemm_kernelILb0ELb0ELi32EPKdS1_PdEvbiiT2_T3_lllS4_lllT4_llli: ; @_ZL24rocblas_symm_hemm_kernelILb0ELb0ELi32EPKdS1_PdEvbiiT2_T3_lllS4_lllT4_llli
; %bb.0:
	s_load_dwordx16 s[12:27], s[4:5], 0x10
	s_waitcnt lgkmcnt(0)
	s_load_dwordx2 s[10:11], s[12:13], 0x0
	s_waitcnt lgkmcnt(0)
	v_cmp_eq_f64_e64 s[0:1], s[10:11], 0
	s_and_b64 vcc, exec, s[0:1]
	s_cbranch_vccnz .LBB7_13
; %bb.1:
	s_load_dwordx4 s[28:31], s[4:5], 0x0
	s_waitcnt lgkmcnt(0)
	s_add_i32 s0, s30, -1
	s_ashr_i32 s1, s0, 31
	s_lshr_b32 s1, s1, 27
	s_add_i32 s0, s0, s1
	s_ashr_i32 s31, s0, 5
	s_cmp_gt_i32 s7, s31
	s_cbranch_scc1 .LBB7_13
; %bb.2:
	s_mul_i32 s0, s8, s21
	s_mul_hi_u32 s1, s8, s20
	s_load_dwordx8 s[36:43], s[4:5], 0x50
	s_add_i32 s1, s1, s0
	s_mul_i32 s0, s8, s20
	s_lshl_b64 s[0:1], s[0:1], 3
	s_add_u32 s2, s14, s0
	s_addc_u32 s3, s15, s1
	s_lshl_b64 s[0:1], s[16:17], 3
	s_add_u32 s16, s2, s0
	s_addc_u32 s17, s3, s1
	s_waitcnt lgkmcnt(0)
	s_mul_i32 s0, s8, s37
	s_mul_hi_u32 s1, s8, s36
	s_add_i32 s1, s1, s0
	s_mul_i32 s0, s8, s36
	s_lshl_b64 s[0:1], s[0:1], 3
	s_add_u32 s2, s22, s0
	s_addc_u32 s9, s23, s1
	s_lshl_b64 s[0:1], s[24:25], 3
	s_add_u32 s20, s2, s0
	s_load_dwordx2 s[2:3], s[4:5], 0x70
	s_load_dword s22, s[4:5], 0x84
	s_addc_u32 s21, s9, s1
	s_bitcmp1_b32 s28, 0
	s_cselect_b64 s[0:1], -1, 0
	s_waitcnt lgkmcnt(0)
	s_mul_i32 s3, s8, s3
	s_mul_hi_u32 s4, s8, s2
	s_add_i32 s3, s4, s3
	s_mul_i32 s2, s8, s2
	s_lshl_b64 s[2:3], s[2:3], 3
	s_add_u32 s4, s38, s2
	s_addc_u32 s5, s39, s3
	s_lshl_b64 s[2:3], s[40:41], 3
	v_and_b32_e32 v10, 0x3ff, v0
	s_add_u32 s4, s4, s2
	v_lshl_add_u32 v2, s6, 5, v10
	v_bfe_u32 v11, v0, 10, 10
	s_addc_u32 s5, s5, s3
	v_lshlrev_b32_e32 v0, 3, v11
	v_lshlrev_b32_e32 v12, 8, v10
	v_ashrrev_i32_e32 v3, 31, v2
	s_cmp_gt_i32 s29, 0
	v_add_u32_e32 v13, v12, v0
	v_or_b32_e32 v14, 0x2000, v0
	v_lshlrev_b64 v[0:1], 3, v[2:3]
	v_mov_b32_e32 v4, s5
	v_add_co_u32_e32 v3, vcc, s4, v0
	s_cselect_b64 s[4:5], -1, 0
	v_cndmask_b32_e64 v0, 0, 1, s[4:5]
	v_add_u32_e32 v15, v14, v12
	v_cmp_gt_i32_e64 s[2:3], s29, v2
	v_addc_co_u32_e32 v16, vcc, v4, v1, vcc
	v_cmp_ne_u32_e64 s[4:5], 1, v0
	v_add_u32_e32 v17, 0x800, v14
	v_add_u32_e32 v18, 0x1000, v14
	;; [unrolled: 1-line block ×3, first 2 shown]
	s_branch .LBB7_4
.LBB7_3:                                ;   in Loop: Header=BB7_4 Depth=1
	s_add_i32 s7, s7, s22
	s_cmp_gt_i32 s7, s31
	s_cbranch_scc1 .LBB7_13
.LBB7_4:                                ; =>This Loop Header: Depth=1
                                        ;     Child Loop BB7_7 Depth 2
	s_and_b64 vcc, exec, s[4:5]
	s_cbranch_vccnz .LBB7_3
; %bb.5:                                ;   in Loop: Header=BB7_4 Depth=1
	v_lshl_add_u32 v4, s7, 5, v11
	v_ashrrev_i32_e32 v5, 31, v4
	v_mul_lo_u32 v6, v5, s26
	v_mul_lo_u32 v7, v4, s27
	v_mad_u64_u32 v[0:1], s[8:9], v4, s26, 0
	v_add3_u32 v1, v1, v7, v6
	v_lshlrev_b64 v[0:1], 3, v[0:1]
	v_mov_b32_e32 v6, s21
	v_add_co_u32_e64 v20, s[8:9], s20, v0
	v_addc_co_u32_e64 v21, s[8:9], v6, v1, s[8:9]
	v_mul_lo_u32 v5, v5, s42
	v_mul_lo_u32 v6, v4, s43
	v_mad_u64_u32 v[0:1], s[8:9], v4, s42, 0
	v_add3_u32 v1, v1, v6, v5
	v_lshlrev_b64 v[0:1], 3, v[0:1]
	v_cmp_gt_i32_e32 vcc, s30, v4
	v_add_co_u32_e64 v0, s[8:9], v3, v0
	s_and_b64 s[12:13], s[2:3], vcc
	v_addc_co_u32_e64 v1, s[8:9], v16, v1, s[8:9]
	s_mov_b32 s6, 0
	s_branch .LBB7_7
.LBB7_6:                                ;   in Loop: Header=BB7_7 Depth=2
	s_or_b64 exec, exec, s[8:9]
	s_add_i32 s6, s6, 32
	s_cmp_ge_i32 s6, s29
	s_barrier
	s_cbranch_scc1 .LBB7_3
.LBB7_7:                                ;   Parent Loop BB7_4 Depth=1
                                        ; =>  This Inner Loop Header: Depth=2
	v_add_u32_e32 v4, s6, v11
	v_cndmask_b32_e64 v5, v4, v2, s[0:1]
	v_cndmask_b32_e64 v6, v2, v4, s[0:1]
	v_cmp_gt_i32_e64 s[8:9], v5, v6
	v_cndmask_b32_e64 v6, v2, v4, s[8:9]
	v_cndmask_b32_e64 v7, v4, v2, s[8:9]
	v_max_i32_e32 v4, v6, v7
	v_cmp_gt_i32_e64 s[8:9], s29, v4
	v_pk_mov_b32 v[4:5], 0, 0
	v_pk_mov_b32 v[8:9], v[4:5], v[4:5] op_sel:[0,1]
	s_and_saveexec_b64 s[14:15], s[8:9]
	s_cbranch_execz .LBB7_9
; %bb.8:                                ;   in Loop: Header=BB7_7 Depth=2
	v_ashrrev_i32_e32 v8, 31, v7
	v_mul_lo_u32 v22, v7, s19
	v_mul_lo_u32 v23, v8, s18
	v_mad_u64_u32 v[8:9], s[8:9], v7, s18, 0
	v_add3_u32 v9, v9, v22, v23
	v_lshlrev_b64 v[8:9], 3, v[8:9]
	v_ashrrev_i32_e32 v7, 31, v6
	v_mov_b32_e32 v22, s17
	v_add_co_u32_e64 v8, s[8:9], s16, v8
	v_addc_co_u32_e64 v9, s[8:9], v22, v9, s[8:9]
	v_lshlrev_b64 v[6:7], 3, v[6:7]
	v_add_co_u32_e64 v6, s[8:9], v8, v6
	v_addc_co_u32_e64 v7, s[8:9], v9, v7, s[8:9]
	global_load_dwordx2 v[8:9], v[6:7], off
.LBB7_9:                                ;   in Loop: Header=BB7_7 Depth=2
	s_or_b64 exec, exec, s[14:15]
	v_add_u32_e32 v6, s6, v10
	v_cmp_gt_i32_e64 s[8:9], s29, v6
	s_and_b64 s[8:9], s[8:9], vcc
	s_waitcnt vmcnt(0)
	ds_write_b64 v13, v[8:9]
	s_and_saveexec_b64 s[14:15], s[8:9]
	s_cbranch_execz .LBB7_11
; %bb.10:                               ;   in Loop: Header=BB7_7 Depth=2
	v_ashrrev_i32_e32 v7, 31, v6
	v_lshlrev_b64 v[4:5], 3, v[6:7]
	v_add_co_u32_e64 v4, s[8:9], v20, v4
	v_addc_co_u32_e64 v5, s[8:9], v21, v5, s[8:9]
	global_load_dwordx2 v[4:5], v[4:5], off
.LBB7_11:                               ;   in Loop: Header=BB7_7 Depth=2
	s_or_b64 exec, exec, s[14:15]
	s_waitcnt vmcnt(0)
	ds_write_b64 v15, v[4:5]
	s_waitcnt lgkmcnt(0)
	s_barrier
	s_and_saveexec_b64 s[8:9], s[12:13]
	s_cbranch_execz .LBB7_6
; %bb.12:                               ;   in Loop: Header=BB7_7 Depth=2
	global_load_dwordx2 v[8:9], v[0:1], off
	ds_read2_b64 v[4:7], v14 offset1:32
	ds_read_b128 v[22:25], v12
	ds_read_b128 v[26:29], v12 offset:16
	ds_read2_b64 v[30:33], v14 offset0:64 offset1:96
	ds_read_b128 v[34:37], v12 offset:32
	ds_read_b128 v[38:41], v12 offset:48
	ds_read2_b64 v[42:45], v14 offset0:128 offset1:160
	s_waitcnt lgkmcnt(5)
	v_fma_f64 v[46:47], v[22:23], v[4:5], 0
	v_fmac_f64_e32 v[46:47], v[24:25], v[6:7]
	ds_read2_b64 v[4:7], v14 offset0:192 offset1:224
	s_waitcnt lgkmcnt(4)
	v_fmac_f64_e32 v[46:47], v[26:27], v[30:31]
	v_fmac_f64_e32 v[46:47], v[28:29], v[32:33]
	s_waitcnt lgkmcnt(1)
	v_fmac_f64_e32 v[46:47], v[34:35], v[42:43]
	v_fmac_f64_e32 v[46:47], v[36:37], v[44:45]
	ds_read2_b64 v[22:25], v17 offset1:32
	ds_read_b128 v[26:29], v12 offset:64
	s_waitcnt lgkmcnt(2)
	v_fmac_f64_e32 v[46:47], v[38:39], v[4:5]
	v_fmac_f64_e32 v[46:47], v[40:41], v[6:7]
	ds_read_b128 v[4:7], v12 offset:80
	ds_read2_b64 v[30:33], v17 offset0:64 offset1:96
	s_waitcnt lgkmcnt(2)
	v_fmac_f64_e32 v[46:47], v[26:27], v[22:23]
	v_fmac_f64_e32 v[46:47], v[28:29], v[24:25]
	ds_read2_b64 v[22:25], v17 offset0:128 offset1:160
	ds_read_b128 v[26:29], v12 offset:96
	s_waitcnt lgkmcnt(2)
	v_fmac_f64_e32 v[46:47], v[4:5], v[30:31]
	v_fmac_f64_e32 v[46:47], v[6:7], v[32:33]
	ds_read_b128 v[4:7], v12 offset:112
	ds_read2_b64 v[30:33], v17 offset0:192 offset1:224
	s_waitcnt lgkmcnt(2)
	v_fmac_f64_e32 v[46:47], v[26:27], v[22:23]
	v_fmac_f64_e32 v[46:47], v[28:29], v[24:25]
	ds_read2_b64 v[22:25], v18 offset1:32
	ds_read_b128 v[26:29], v12 offset:128
	s_waitcnt lgkmcnt(2)
	v_fmac_f64_e32 v[46:47], v[4:5], v[30:31]
	v_fmac_f64_e32 v[46:47], v[6:7], v[32:33]
	ds_read_b128 v[4:7], v12 offset:144
	ds_read2_b64 v[30:33], v18 offset0:64 offset1:96
	s_waitcnt lgkmcnt(2)
	v_fmac_f64_e32 v[46:47], v[26:27], v[22:23]
	v_fmac_f64_e32 v[46:47], v[28:29], v[24:25]
	ds_read2_b64 v[22:25], v18 offset0:128 offset1:160
	ds_read_b128 v[26:29], v12 offset:160
	s_waitcnt lgkmcnt(2)
	v_fmac_f64_e32 v[46:47], v[4:5], v[30:31]
	v_fmac_f64_e32 v[46:47], v[6:7], v[32:33]
	ds_read_b128 v[4:7], v12 offset:176
	ds_read2_b64 v[30:33], v18 offset0:192 offset1:224
	ds_read2_b64 v[34:37], v19 offset1:32
	ds_read_b128 v[38:41], v12 offset:192
	s_waitcnt lgkmcnt(4)
	v_fmac_f64_e32 v[46:47], v[26:27], v[22:23]
	v_fmac_f64_e32 v[46:47], v[28:29], v[24:25]
	s_waitcnt lgkmcnt(2)
	v_fmac_f64_e32 v[46:47], v[4:5], v[30:31]
	v_fmac_f64_e32 v[46:47], v[6:7], v[32:33]
	ds_read_b128 v[4:7], v12 offset:208
	s_waitcnt lgkmcnt(1)
	v_fmac_f64_e32 v[46:47], v[38:39], v[34:35]
	v_fmac_f64_e32 v[46:47], v[40:41], v[36:37]
	ds_read2_b64 v[22:25], v19 offset0:64 offset1:96
	ds_read2_b64 v[26:29], v19 offset0:128 offset1:160
	ds_read_b128 v[30:33], v12 offset:224
	ds_read_b128 v[34:37], v12 offset:240
	ds_read2_b64 v[38:41], v19 offset0:192 offset1:224
	s_waitcnt lgkmcnt(4)
	v_fmac_f64_e32 v[46:47], v[4:5], v[22:23]
	v_fmac_f64_e32 v[46:47], v[6:7], v[24:25]
	s_waitcnt lgkmcnt(2)
	v_fmac_f64_e32 v[46:47], v[30:31], v[26:27]
	v_fmac_f64_e32 v[46:47], v[32:33], v[28:29]
	;; [unrolled: 3-line block ×3, first 2 shown]
	s_waitcnt vmcnt(0)
	v_fmac_f64_e32 v[8:9], s[10:11], v[46:47]
	global_store_dwordx2 v[0:1], v[8:9], off
	s_branch .LBB7_6
.LBB7_13:
	s_endpgm
	.section	.rodata,"a",@progbits
	.p2align	6, 0x0
	.amdhsa_kernel _ZL24rocblas_symm_hemm_kernelILb0ELb0ELi32EPKdS1_PdEvbiiT2_T3_lllS4_lllT4_llli
		.amdhsa_group_segment_fixed_size 16384
		.amdhsa_private_segment_fixed_size 0
		.amdhsa_kernarg_size 384
		.amdhsa_user_sgpr_count 6
		.amdhsa_user_sgpr_private_segment_buffer 1
		.amdhsa_user_sgpr_dispatch_ptr 0
		.amdhsa_user_sgpr_queue_ptr 0
		.amdhsa_user_sgpr_kernarg_segment_ptr 1
		.amdhsa_user_sgpr_dispatch_id 0
		.amdhsa_user_sgpr_flat_scratch_init 0
		.amdhsa_user_sgpr_kernarg_preload_length 0
		.amdhsa_user_sgpr_kernarg_preload_offset 0
		.amdhsa_user_sgpr_private_segment_size 0
		.amdhsa_uses_dynamic_stack 0
		.amdhsa_system_sgpr_private_segment_wavefront_offset 0
		.amdhsa_system_sgpr_workgroup_id_x 1
		.amdhsa_system_sgpr_workgroup_id_y 1
		.amdhsa_system_sgpr_workgroup_id_z 1
		.amdhsa_system_sgpr_workgroup_info 0
		.amdhsa_system_vgpr_workitem_id 1
		.amdhsa_next_free_vgpr 48
		.amdhsa_next_free_sgpr 44
		.amdhsa_accum_offset 48
		.amdhsa_reserve_vcc 1
		.amdhsa_reserve_flat_scratch 0
		.amdhsa_float_round_mode_32 0
		.amdhsa_float_round_mode_16_64 0
		.amdhsa_float_denorm_mode_32 3
		.amdhsa_float_denorm_mode_16_64 3
		.amdhsa_dx10_clamp 1
		.amdhsa_ieee_mode 1
		.amdhsa_fp16_overflow 0
		.amdhsa_tg_split 0
		.amdhsa_exception_fp_ieee_invalid_op 0
		.amdhsa_exception_fp_denorm_src 0
		.amdhsa_exception_fp_ieee_div_zero 0
		.amdhsa_exception_fp_ieee_overflow 0
		.amdhsa_exception_fp_ieee_underflow 0
		.amdhsa_exception_fp_ieee_inexact 0
		.amdhsa_exception_int_div_zero 0
	.end_amdhsa_kernel
	.section	.text._ZL24rocblas_symm_hemm_kernelILb0ELb0ELi32EPKdS1_PdEvbiiT2_T3_lllS4_lllT4_llli,"axG",@progbits,_ZL24rocblas_symm_hemm_kernelILb0ELb0ELi32EPKdS1_PdEvbiiT2_T3_lllS4_lllT4_llli,comdat
.Lfunc_end7:
	.size	_ZL24rocblas_symm_hemm_kernelILb0ELb0ELi32EPKdS1_PdEvbiiT2_T3_lllS4_lllT4_llli, .Lfunc_end7-_ZL24rocblas_symm_hemm_kernelILb0ELb0ELi32EPKdS1_PdEvbiiT2_T3_lllS4_lllT4_llli
                                        ; -- End function
	.section	.AMDGPU.csdata,"",@progbits
; Kernel info:
; codeLenInByte = 1328
; NumSgprs: 48
; NumVgprs: 48
; NumAgprs: 0
; TotalNumVgprs: 48
; ScratchSize: 0
; MemoryBound: 0
; FloatMode: 240
; IeeeMode: 1
; LDSByteSize: 16384 bytes/workgroup (compile time only)
; SGPRBlocks: 5
; VGPRBlocks: 5
; NumSGPRsForWavesPerEU: 48
; NumVGPRsForWavesPerEU: 48
; AccumOffset: 48
; Occupancy: 8
; WaveLimiterHint : 0
; COMPUTE_PGM_RSRC2:SCRATCH_EN: 0
; COMPUTE_PGM_RSRC2:USER_SGPR: 6
; COMPUTE_PGM_RSRC2:TRAP_HANDLER: 0
; COMPUTE_PGM_RSRC2:TGID_X_EN: 1
; COMPUTE_PGM_RSRC2:TGID_Y_EN: 1
; COMPUTE_PGM_RSRC2:TGID_Z_EN: 1
; COMPUTE_PGM_RSRC2:TIDIG_COMP_CNT: 1
; COMPUTE_PGM_RSRC3_GFX90A:ACCUM_OFFSET: 11
; COMPUTE_PGM_RSRC3_GFX90A:TG_SPLIT: 0
	.section	.text._ZL24rocblas_symm_hemm_kernelILb0ELb1ELi32EPKdS1_PdEvbiiT2_T3_lllS4_lllT4_llli,"axG",@progbits,_ZL24rocblas_symm_hemm_kernelILb0ELb1ELi32EPKdS1_PdEvbiiT2_T3_lllS4_lllT4_llli,comdat
	.globl	_ZL24rocblas_symm_hemm_kernelILb0ELb1ELi32EPKdS1_PdEvbiiT2_T3_lllS4_lllT4_llli ; -- Begin function _ZL24rocblas_symm_hemm_kernelILb0ELb1ELi32EPKdS1_PdEvbiiT2_T3_lllS4_lllT4_llli
	.p2align	8
	.type	_ZL24rocblas_symm_hemm_kernelILb0ELb1ELi32EPKdS1_PdEvbiiT2_T3_lllS4_lllT4_llli,@function
_ZL24rocblas_symm_hemm_kernelILb0ELb1ELi32EPKdS1_PdEvbiiT2_T3_lllS4_lllT4_llli: ; @_ZL24rocblas_symm_hemm_kernelILb0ELb1ELi32EPKdS1_PdEvbiiT2_T3_lllS4_lllT4_llli
; %bb.0:
	s_load_dwordx16 s[12:27], s[4:5], 0x10
	s_waitcnt lgkmcnt(0)
	s_load_dwordx2 s[10:11], s[12:13], 0x0
	s_waitcnt lgkmcnt(0)
	v_cmp_eq_f64_e64 s[0:1], s[10:11], 0
	s_and_b64 vcc, exec, s[0:1]
	s_cbranch_vccnz .LBB8_13
; %bb.1:
	s_load_dwordx4 s[28:31], s[4:5], 0x0
	s_waitcnt lgkmcnt(0)
	s_add_i32 s0, s30, -1
	s_ashr_i32 s1, s0, 31
	s_lshr_b32 s1, s1, 27
	s_add_i32 s0, s0, s1
	s_ashr_i32 s31, s0, 5
	s_cmp_gt_i32 s7, s31
	s_cbranch_scc1 .LBB8_13
; %bb.2:
	s_mul_i32 s0, s8, s21
	s_mul_hi_u32 s1, s8, s20
	s_add_i32 s1, s1, s0
	s_mul_i32 s0, s8, s20
	s_lshl_b64 s[0:1], s[0:1], 3
	s_add_u32 s2, s14, s0
	s_addc_u32 s3, s15, s1
	s_lshl_b64 s[0:1], s[16:17], 3
	s_add_u32 s14, s2, s0
	s_addc_u32 s15, s3, s1
	s_load_dwordx2 s[2:3], s[4:5], 0x70
	s_load_dwordx8 s[36:43], s[4:5], 0x50
	s_load_dword s16, s[4:5], 0x84
	s_bitcmp1_b32 s28, 0
	s_cselect_b64 s[0:1], -1, 0
	v_and_b32_e32 v6, 0x3ff, v0
	s_waitcnt lgkmcnt(0)
	s_mul_i32 s3, s8, s3
	s_mul_hi_u32 s4, s8, s2
	s_add_i32 s3, s4, s3
	s_mul_i32 s2, s8, s2
	s_lshl_b64 s[2:3], s[2:3], 3
	s_add_u32 s4, s38, s2
	s_addc_u32 s5, s39, s3
	s_lshl_b64 s[2:3], s[40:41], 3
	s_add_u32 s4, s4, s2
	s_addc_u32 s5, s5, s3
	s_mul_i32 s2, s8, s37
	s_mul_hi_u32 s3, s8, s36
	s_add_i32 s3, s3, s2
	s_mul_i32 s2, s8, s36
	s_lshl_b64 s[2:3], s[2:3], 3
	s_add_u32 s8, s22, s2
	s_addc_u32 s9, s23, s3
	s_lshl_b64 s[2:3], s[24:25], 3
	v_lshl_add_u32 v2, s6, 5, v6
	s_add_u32 s8, s8, s2
	v_ashrrev_i32_e32 v3, 31, v2
	s_addc_u32 s9, s9, s3
	v_bfe_u32 v7, v0, 10, 10
	v_lshlrev_b64 v[0:1], 3, v[2:3]
	v_cmp_gt_i32_e64 s[2:3], s29, v2
	v_mov_b32_e32 v2, s9
	v_add_co_u32_e32 v8, vcc, s8, v0
	s_cmp_gt_i32 s30, 0
	v_addc_co_u32_e32 v9, vcc, v2, v1, vcc
	v_lshlrev_b32_e32 v2, 3, v7
	v_lshlrev_b32_e32 v10, 8, v6
	v_add_u32_e32 v11, v10, v2
	v_or_b32_e32 v12, 0x2000, v2
	v_mov_b32_e32 v2, s5
	v_add_co_u32_e32 v14, vcc, s4, v0
	s_cselect_b64 s[4:5], -1, 0
	v_cndmask_b32_e64 v0, 0, 1, s[4:5]
	v_add_u32_e32 v13, v12, v10
	v_addc_co_u32_e32 v15, vcc, v2, v1, vcc
	v_cmp_ne_u32_e64 s[4:5], 1, v0
	v_add_u32_e32 v16, 0x800, v12
	v_add_u32_e32 v17, 0x1000, v12
	;; [unrolled: 1-line block ×3, first 2 shown]
	s_branch .LBB8_4
.LBB8_3:                                ;   in Loop: Header=BB8_4 Depth=1
	s_add_i32 s7, s7, s16
	s_cmp_gt_i32 s7, s31
	s_cbranch_scc1 .LBB8_13
.LBB8_4:                                ; =>This Loop Header: Depth=1
                                        ;     Child Loop BB8_7 Depth 2
	s_and_b64 vcc, exec, s[4:5]
	s_cbranch_vccnz .LBB8_3
; %bb.5:                                ;   in Loop: Header=BB8_4 Depth=1
	v_lshl_add_u32 v19, s7, 5, v7
	v_ashrrev_i32_e32 v0, 31, v19
	v_mul_lo_u32 v2, v0, s42
	v_mul_lo_u32 v3, v19, s43
	v_mad_u64_u32 v[0:1], s[12:13], v19, s42, 0
	v_add3_u32 v1, v1, v3, v2
	v_cmp_gt_i32_e32 vcc, s30, v19
	v_lshlrev_b64 v[0:1], 3, v[0:1]
	s_and_b64 s[8:9], s[2:3], vcc
	v_add_co_u32_e32 v0, vcc, v14, v0
	v_addc_co_u32_e32 v1, vcc, v15, v1, vcc
	s_mov_b32 s6, 0
	s_branch .LBB8_7
.LBB8_6:                                ;   in Loop: Header=BB8_7 Depth=2
	s_or_b64 exec, exec, s[12:13]
	s_add_i32 s6, s6, 32
	s_cmp_ge_i32 s6, s30
	s_barrier
	s_cbranch_scc1 .LBB8_3
.LBB8_7:                                ;   Parent Loop BB8_4 Depth=1
                                        ; =>  This Inner Loop Header: Depth=2
	v_add_u32_e32 v20, s6, v7
	v_cmp_gt_i32_e32 vcc, s30, v20
	v_pk_mov_b32 v[2:3], 0, 0
	s_and_b64 s[20:21], s[2:3], vcc
	v_pk_mov_b32 v[4:5], v[2:3], v[2:3] op_sel:[0,1]
	s_and_saveexec_b64 s[12:13], s[20:21]
	s_cbranch_execz .LBB8_9
; %bb.8:                                ;   in Loop: Header=BB8_7 Depth=2
	v_ashrrev_i32_e32 v4, 31, v20
	v_mul_lo_u32 v21, v20, s27
	v_mul_lo_u32 v22, v4, s26
	v_mad_u64_u32 v[4:5], s[20:21], v20, s26, 0
	v_add3_u32 v5, v5, v21, v22
	v_lshlrev_b64 v[4:5], 3, v[4:5]
	v_add_co_u32_e32 v4, vcc, v8, v4
	v_addc_co_u32_e32 v5, vcc, v9, v5, vcc
	global_load_dwordx2 v[4:5], v[4:5], off
.LBB8_9:                                ;   in Loop: Header=BB8_7 Depth=2
	s_or_b64 exec, exec, s[12:13]
	s_waitcnt vmcnt(0)
	ds_write_b64 v11, v[4:5]
	v_add_u32_e32 v5, s6, v6
	v_cndmask_b32_e64 v4, v19, v5, s[0:1]
	v_cndmask_b32_e64 v20, v5, v19, s[0:1]
	v_cmp_gt_i32_e32 vcc, v4, v20
	v_cndmask_b32_e32 v4, v5, v19, vcc
	v_cndmask_b32_e32 v5, v19, v5, vcc
	v_max_i32_e32 v20, v4, v5
	v_cmp_gt_i32_e32 vcc, s30, v20
	s_and_saveexec_b64 s[12:13], vcc
	s_cbranch_execz .LBB8_11
; %bb.10:                               ;   in Loop: Header=BB8_7 Depth=2
	v_ashrrev_i32_e32 v2, 31, v5
	v_mul_lo_u32 v20, v5, s19
	v_mul_lo_u32 v21, v2, s18
	v_mad_u64_u32 v[2:3], s[20:21], v5, s18, 0
	v_add3_u32 v3, v3, v20, v21
	v_lshlrev_b64 v[2:3], 3, v[2:3]
	v_ashrrev_i32_e32 v5, 31, v4
	v_mov_b32_e32 v20, s15
	v_add_co_u32_e32 v21, vcc, s14, v2
	v_addc_co_u32_e32 v20, vcc, v20, v3, vcc
	v_lshlrev_b64 v[2:3], 3, v[4:5]
	v_add_co_u32_e32 v2, vcc, v21, v2
	v_addc_co_u32_e32 v3, vcc, v20, v3, vcc
	global_load_dwordx2 v[2:3], v[2:3], off
.LBB8_11:                               ;   in Loop: Header=BB8_7 Depth=2
	s_or_b64 exec, exec, s[12:13]
	s_waitcnt vmcnt(0)
	ds_write_b64 v13, v[2:3]
	s_waitcnt lgkmcnt(0)
	s_barrier
	s_and_saveexec_b64 s[12:13], s[8:9]
	s_cbranch_execz .LBB8_6
; %bb.12:                               ;   in Loop: Header=BB8_7 Depth=2
	global_load_dwordx2 v[44:45], v[0:1], off
	ds_read2_b64 v[2:5], v12 offset1:32
	ds_read_b128 v[20:23], v10
	ds_read_b128 v[24:27], v10 offset:16
	ds_read2_b64 v[28:31], v12 offset0:64 offset1:96
	ds_read_b128 v[32:35], v10 offset:32
	ds_read_b128 v[36:39], v10 offset:48
	ds_read2_b64 v[40:43], v12 offset0:128 offset1:160
	s_waitcnt lgkmcnt(5)
	v_fma_f64 v[46:47], v[20:21], v[2:3], 0
	v_fmac_f64_e32 v[46:47], v[22:23], v[4:5]
	ds_read2_b64 v[2:5], v12 offset0:192 offset1:224
	s_waitcnt lgkmcnt(4)
	v_fmac_f64_e32 v[46:47], v[24:25], v[28:29]
	v_fmac_f64_e32 v[46:47], v[26:27], v[30:31]
	s_waitcnt lgkmcnt(1)
	v_fmac_f64_e32 v[46:47], v[32:33], v[40:41]
	v_fmac_f64_e32 v[46:47], v[34:35], v[42:43]
	ds_read2_b64 v[20:23], v16 offset1:32
	ds_read_b128 v[24:27], v10 offset:64
	s_waitcnt lgkmcnt(2)
	v_fmac_f64_e32 v[46:47], v[36:37], v[2:3]
	v_fmac_f64_e32 v[46:47], v[38:39], v[4:5]
	ds_read_b128 v[2:5], v10 offset:80
	ds_read2_b64 v[28:31], v16 offset0:64 offset1:96
	s_waitcnt lgkmcnt(2)
	v_fmac_f64_e32 v[46:47], v[24:25], v[20:21]
	v_fmac_f64_e32 v[46:47], v[26:27], v[22:23]
	ds_read2_b64 v[20:23], v16 offset0:128 offset1:160
	ds_read_b128 v[24:27], v10 offset:96
	s_waitcnt lgkmcnt(2)
	v_fmac_f64_e32 v[46:47], v[2:3], v[28:29]
	v_fmac_f64_e32 v[46:47], v[4:5], v[30:31]
	ds_read_b128 v[2:5], v10 offset:112
	ds_read2_b64 v[28:31], v16 offset0:192 offset1:224
	s_waitcnt lgkmcnt(2)
	v_fmac_f64_e32 v[46:47], v[24:25], v[20:21]
	v_fmac_f64_e32 v[46:47], v[26:27], v[22:23]
	ds_read2_b64 v[20:23], v17 offset1:32
	ds_read_b128 v[24:27], v10 offset:128
	s_waitcnt lgkmcnt(2)
	v_fmac_f64_e32 v[46:47], v[2:3], v[28:29]
	v_fmac_f64_e32 v[46:47], v[4:5], v[30:31]
	ds_read_b128 v[2:5], v10 offset:144
	ds_read2_b64 v[28:31], v17 offset0:64 offset1:96
	s_waitcnt lgkmcnt(2)
	v_fmac_f64_e32 v[46:47], v[24:25], v[20:21]
	v_fmac_f64_e32 v[46:47], v[26:27], v[22:23]
	ds_read2_b64 v[20:23], v17 offset0:128 offset1:160
	ds_read_b128 v[24:27], v10 offset:160
	s_waitcnt lgkmcnt(2)
	v_fmac_f64_e32 v[46:47], v[2:3], v[28:29]
	v_fmac_f64_e32 v[46:47], v[4:5], v[30:31]
	ds_read_b128 v[2:5], v10 offset:176
	ds_read2_b64 v[28:31], v17 offset0:192 offset1:224
	ds_read2_b64 v[32:35], v18 offset1:32
	ds_read_b128 v[36:39], v10 offset:192
	s_waitcnt lgkmcnt(4)
	v_fmac_f64_e32 v[46:47], v[24:25], v[20:21]
	v_fmac_f64_e32 v[46:47], v[26:27], v[22:23]
	s_waitcnt lgkmcnt(2)
	v_fmac_f64_e32 v[46:47], v[2:3], v[28:29]
	v_fmac_f64_e32 v[46:47], v[4:5], v[30:31]
	ds_read_b128 v[2:5], v10 offset:208
	s_waitcnt lgkmcnt(1)
	v_fmac_f64_e32 v[46:47], v[36:37], v[32:33]
	v_fmac_f64_e32 v[46:47], v[38:39], v[34:35]
	ds_read2_b64 v[20:23], v18 offset0:64 offset1:96
	ds_read2_b64 v[24:27], v18 offset0:128 offset1:160
	ds_read_b128 v[28:31], v10 offset:224
	ds_read_b128 v[32:35], v10 offset:240
	ds_read2_b64 v[36:39], v18 offset0:192 offset1:224
	s_waitcnt lgkmcnt(4)
	v_fmac_f64_e32 v[46:47], v[2:3], v[20:21]
	v_fmac_f64_e32 v[46:47], v[4:5], v[22:23]
	s_waitcnt lgkmcnt(2)
	v_fmac_f64_e32 v[46:47], v[28:29], v[24:25]
	v_fmac_f64_e32 v[46:47], v[30:31], v[26:27]
	;; [unrolled: 3-line block ×3, first 2 shown]
	s_waitcnt vmcnt(0)
	v_fmac_f64_e32 v[44:45], s[10:11], v[46:47]
	global_store_dwordx2 v[0:1], v[44:45], off
	s_branch .LBB8_6
.LBB8_13:
	s_endpgm
	.section	.rodata,"a",@progbits
	.p2align	6, 0x0
	.amdhsa_kernel _ZL24rocblas_symm_hemm_kernelILb0ELb1ELi32EPKdS1_PdEvbiiT2_T3_lllS4_lllT4_llli
		.amdhsa_group_segment_fixed_size 16384
		.amdhsa_private_segment_fixed_size 0
		.amdhsa_kernarg_size 384
		.amdhsa_user_sgpr_count 6
		.amdhsa_user_sgpr_private_segment_buffer 1
		.amdhsa_user_sgpr_dispatch_ptr 0
		.amdhsa_user_sgpr_queue_ptr 0
		.amdhsa_user_sgpr_kernarg_segment_ptr 1
		.amdhsa_user_sgpr_dispatch_id 0
		.amdhsa_user_sgpr_flat_scratch_init 0
		.amdhsa_user_sgpr_kernarg_preload_length 0
		.amdhsa_user_sgpr_kernarg_preload_offset 0
		.amdhsa_user_sgpr_private_segment_size 0
		.amdhsa_uses_dynamic_stack 0
		.amdhsa_system_sgpr_private_segment_wavefront_offset 0
		.amdhsa_system_sgpr_workgroup_id_x 1
		.amdhsa_system_sgpr_workgroup_id_y 1
		.amdhsa_system_sgpr_workgroup_id_z 1
		.amdhsa_system_sgpr_workgroup_info 0
		.amdhsa_system_vgpr_workitem_id 1
		.amdhsa_next_free_vgpr 48
		.amdhsa_next_free_sgpr 44
		.amdhsa_accum_offset 48
		.amdhsa_reserve_vcc 1
		.amdhsa_reserve_flat_scratch 0
		.amdhsa_float_round_mode_32 0
		.amdhsa_float_round_mode_16_64 0
		.amdhsa_float_denorm_mode_32 3
		.amdhsa_float_denorm_mode_16_64 3
		.amdhsa_dx10_clamp 1
		.amdhsa_ieee_mode 1
		.amdhsa_fp16_overflow 0
		.amdhsa_tg_split 0
		.amdhsa_exception_fp_ieee_invalid_op 0
		.amdhsa_exception_fp_denorm_src 0
		.amdhsa_exception_fp_ieee_div_zero 0
		.amdhsa_exception_fp_ieee_overflow 0
		.amdhsa_exception_fp_ieee_underflow 0
		.amdhsa_exception_fp_ieee_inexact 0
		.amdhsa_exception_int_div_zero 0
	.end_amdhsa_kernel
	.section	.text._ZL24rocblas_symm_hemm_kernelILb0ELb1ELi32EPKdS1_PdEvbiiT2_T3_lllS4_lllT4_llli,"axG",@progbits,_ZL24rocblas_symm_hemm_kernelILb0ELb1ELi32EPKdS1_PdEvbiiT2_T3_lllS4_lllT4_llli,comdat
.Lfunc_end8:
	.size	_ZL24rocblas_symm_hemm_kernelILb0ELb1ELi32EPKdS1_PdEvbiiT2_T3_lllS4_lllT4_llli, .Lfunc_end8-_ZL24rocblas_symm_hemm_kernelILb0ELb1ELi32EPKdS1_PdEvbiiT2_T3_lllS4_lllT4_llli
                                        ; -- End function
	.section	.AMDGPU.csdata,"",@progbits
; Kernel info:
; codeLenInByte = 1256
; NumSgprs: 48
; NumVgprs: 48
; NumAgprs: 0
; TotalNumVgprs: 48
; ScratchSize: 0
; MemoryBound: 0
; FloatMode: 240
; IeeeMode: 1
; LDSByteSize: 16384 bytes/workgroup (compile time only)
; SGPRBlocks: 5
; VGPRBlocks: 5
; NumSGPRsForWavesPerEU: 48
; NumVGPRsForWavesPerEU: 48
; AccumOffset: 48
; Occupancy: 8
; WaveLimiterHint : 0
; COMPUTE_PGM_RSRC2:SCRATCH_EN: 0
; COMPUTE_PGM_RSRC2:USER_SGPR: 6
; COMPUTE_PGM_RSRC2:TRAP_HANDLER: 0
; COMPUTE_PGM_RSRC2:TGID_X_EN: 1
; COMPUTE_PGM_RSRC2:TGID_Y_EN: 1
; COMPUTE_PGM_RSRC2:TGID_Z_EN: 1
; COMPUTE_PGM_RSRC2:TIDIG_COMP_CNT: 1
; COMPUTE_PGM_RSRC3_GFX90A:ACCUM_OFFSET: 11
; COMPUTE_PGM_RSRC3_GFX90A:TG_SPLIT: 0
	.section	.text._ZL25rocblas_symm_scale_kernelILi128ELi8EdPdEviiT1_T2_llli,"axG",@progbits,_ZL25rocblas_symm_scale_kernelILi128ELi8EdPdEviiT1_T2_llli,comdat
	.globl	_ZL25rocblas_symm_scale_kernelILi128ELi8EdPdEviiT1_T2_llli ; -- Begin function _ZL25rocblas_symm_scale_kernelILi128ELi8EdPdEviiT1_T2_llli
	.p2align	8
	.type	_ZL25rocblas_symm_scale_kernelILi128ELi8EdPdEviiT1_T2_llli,@function
_ZL25rocblas_symm_scale_kernelILi128ELi8EdPdEviiT1_T2_llli: ; @_ZL25rocblas_symm_scale_kernelILi128ELi8EdPdEviiT1_T2_llli
; %bb.0:
	s_load_dwordx8 s[12:19], s[4:5], 0x8
	s_waitcnt lgkmcnt(0)
	v_cmp_eq_f64_e64 s[0:1], s[12:13], 1.0
	s_and_b64 vcc, exec, s[0:1]
	s_cbranch_vccnz .LBB9_7
; %bb.1:
	s_load_dwordx2 s[0:1], s[4:5], 0x0
	v_and_b32_e32 v1, 0x3ff, v0
	v_bfe_u32 v0, v0, 10, 10
	v_lshl_add_u32 v2, s6, 7, v1
	v_lshl_add_u32 v0, s7, 3, v0
	v_mov_b32_e32 v1, 0
	s_waitcnt lgkmcnt(0)
	s_ashr_i32 s3, s1, 31
	s_mov_b32 s2, s1
	v_cmp_gt_u32_e32 vcc, s0, v2
	v_cmp_gt_i64_e64 s[0:1], s[2:3], v[0:1]
	s_and_b64 s[0:1], vcc, s[0:1]
	s_and_saveexec_b64 s[6:7], s[0:1]
	s_cbranch_execz .LBB9_7
; %bb.2:
	s_load_dword s6, s[4:5], 0x3c
	s_load_dwordx2 s[0:1], s[4:5], 0x28
	v_mov_b32_e32 v3, v1
	v_lshlrev_b64 v[2:3], 3, v[2:3]
	s_mov_b32 s10, 0
	s_waitcnt lgkmcnt(0)
	s_lshl_b32 s9, s6, 3
	s_mul_i32 s1, s1, s8
	s_mul_hi_u32 s6, s0, s8
	s_add_i32 s1, s6, s1
	v_mad_u64_u32 v[4:5], s[6:7], s18, v0, 0
	v_mov_b32_e32 v6, v5
	s_mul_i32 s0, s0, s8
	v_mad_u64_u32 v[6:7], s[6:7], s19, v0, v[6:7]
	s_lshl_b64 s[0:1], s[0:1], 3
	s_lshl_b64 s[6:7], s[16:17], 3
	v_mov_b32_e32 v5, v6
	s_add_u32 s0, s6, s0
	v_lshlrev_b64 v[4:5], 3, v[4:5]
	s_addc_u32 s1, s7, s1
	v_mov_b32_e32 v6, s1
	v_add_co_u32_e32 v4, vcc, s0, v4
	v_addc_co_u32_e32 v5, vcc, v6, v5, vcc
	v_add_co_u32_e32 v2, vcc, v4, v2
	s_mul_i32 s0, s19, s9
	s_mul_hi_u32 s1, s18, s9
	v_addc_co_u32_e32 v3, vcc, v5, v3, vcc
	s_add_i32 s1, s1, s0
	s_mul_i32 s0, s18, s9
	v_mov_b32_e32 v4, s15
	v_add_co_u32_e32 v2, vcc, s14, v2
	s_lshl_b64 s[6:7], s[0:1], 3
	v_cmp_neq_f64_e64 s[0:1], s[12:13], 0
	v_addc_co_u32_e32 v3, vcc, v4, v3, vcc
	v_cndmask_b32_e64 v4, 0, 1, s[0:1]
	s_mov_b64 s[4:5], 0
	v_cmp_ne_u32_e64 s[0:1], 1, v4
	v_mov_b32_e32 v6, s10
	v_mov_b32_e32 v7, s7
	s_branch .LBB9_5
.LBB9_3:                                ;   in Loop: Header=BB9_5 Depth=1
	global_load_dwordx2 v[4:5], v[2:3], off
	s_waitcnt vmcnt(0)
	v_mul_f64 v[4:5], v[4:5], s[12:13]
.LBB9_4:                                ;   in Loop: Header=BB9_5 Depth=1
	v_add_co_u32_e32 v0, vcc, s9, v0
	v_addc_co_u32_e32 v1, vcc, v1, v6, vcc
	v_cmp_le_i64_e32 vcc, s[2:3], v[0:1]
	global_store_dwordx2 v[2:3], v[4:5], off
	s_or_b64 s[4:5], vcc, s[4:5]
	v_add_co_u32_e32 v2, vcc, s6, v2
	v_addc_co_u32_e32 v3, vcc, v3, v7, vcc
	s_andn2_b64 exec, exec, s[4:5]
	s_cbranch_execz .LBB9_7
.LBB9_5:                                ; =>This Inner Loop Header: Depth=1
	s_and_b64 vcc, exec, s[0:1]
	s_cbranch_vccz .LBB9_3
; %bb.6:                                ;   in Loop: Header=BB9_5 Depth=1
	v_pk_mov_b32 v[4:5], 0, 0
	s_branch .LBB9_4
.LBB9_7:
	s_endpgm
	.section	.rodata,"a",@progbits
	.p2align	6, 0x0
	.amdhsa_kernel _ZL25rocblas_symm_scale_kernelILi128ELi8EdPdEviiT1_T2_llli
		.amdhsa_group_segment_fixed_size 0
		.amdhsa_private_segment_fixed_size 0
		.amdhsa_kernarg_size 312
		.amdhsa_user_sgpr_count 6
		.amdhsa_user_sgpr_private_segment_buffer 1
		.amdhsa_user_sgpr_dispatch_ptr 0
		.amdhsa_user_sgpr_queue_ptr 0
		.amdhsa_user_sgpr_kernarg_segment_ptr 1
		.amdhsa_user_sgpr_dispatch_id 0
		.amdhsa_user_sgpr_flat_scratch_init 0
		.amdhsa_user_sgpr_kernarg_preload_length 0
		.amdhsa_user_sgpr_kernarg_preload_offset 0
		.amdhsa_user_sgpr_private_segment_size 0
		.amdhsa_uses_dynamic_stack 0
		.amdhsa_system_sgpr_private_segment_wavefront_offset 0
		.amdhsa_system_sgpr_workgroup_id_x 1
		.amdhsa_system_sgpr_workgroup_id_y 1
		.amdhsa_system_sgpr_workgroup_id_z 1
		.amdhsa_system_sgpr_workgroup_info 0
		.amdhsa_system_vgpr_workitem_id 1
		.amdhsa_next_free_vgpr 8
		.amdhsa_next_free_sgpr 20
		.amdhsa_accum_offset 8
		.amdhsa_reserve_vcc 1
		.amdhsa_reserve_flat_scratch 0
		.amdhsa_float_round_mode_32 0
		.amdhsa_float_round_mode_16_64 0
		.amdhsa_float_denorm_mode_32 3
		.amdhsa_float_denorm_mode_16_64 3
		.amdhsa_dx10_clamp 1
		.amdhsa_ieee_mode 1
		.amdhsa_fp16_overflow 0
		.amdhsa_tg_split 0
		.amdhsa_exception_fp_ieee_invalid_op 0
		.amdhsa_exception_fp_denorm_src 0
		.amdhsa_exception_fp_ieee_div_zero 0
		.amdhsa_exception_fp_ieee_overflow 0
		.amdhsa_exception_fp_ieee_underflow 0
		.amdhsa_exception_fp_ieee_inexact 0
		.amdhsa_exception_int_div_zero 0
	.end_amdhsa_kernel
	.section	.text._ZL25rocblas_symm_scale_kernelILi128ELi8EdPdEviiT1_T2_llli,"axG",@progbits,_ZL25rocblas_symm_scale_kernelILi128ELi8EdPdEviiT1_T2_llli,comdat
.Lfunc_end9:
	.size	_ZL25rocblas_symm_scale_kernelILi128ELi8EdPdEviiT1_T2_llli, .Lfunc_end9-_ZL25rocblas_symm_scale_kernelILi128ELi8EdPdEviiT1_T2_llli
                                        ; -- End function
	.section	.AMDGPU.csdata,"",@progbits
; Kernel info:
; codeLenInByte = 388
; NumSgprs: 24
; NumVgprs: 8
; NumAgprs: 0
; TotalNumVgprs: 8
; ScratchSize: 0
; MemoryBound: 1
; FloatMode: 240
; IeeeMode: 1
; LDSByteSize: 0 bytes/workgroup (compile time only)
; SGPRBlocks: 2
; VGPRBlocks: 0
; NumSGPRsForWavesPerEU: 24
; NumVGPRsForWavesPerEU: 8
; AccumOffset: 8
; Occupancy: 8
; WaveLimiterHint : 0
; COMPUTE_PGM_RSRC2:SCRATCH_EN: 0
; COMPUTE_PGM_RSRC2:USER_SGPR: 6
; COMPUTE_PGM_RSRC2:TRAP_HANDLER: 0
; COMPUTE_PGM_RSRC2:TGID_X_EN: 1
; COMPUTE_PGM_RSRC2:TGID_Y_EN: 1
; COMPUTE_PGM_RSRC2:TGID_Z_EN: 1
; COMPUTE_PGM_RSRC2:TIDIG_COMP_CNT: 1
; COMPUTE_PGM_RSRC3_GFX90A:ACCUM_OFFSET: 1
; COMPUTE_PGM_RSRC3_GFX90A:TG_SPLIT: 0
	.section	.text._ZL24rocblas_symm_hemm_kernelILb0ELb0ELi32EdPKdPdEvbiiT2_T3_lllS4_lllT4_llli,"axG",@progbits,_ZL24rocblas_symm_hemm_kernelILb0ELb0ELi32EdPKdPdEvbiiT2_T3_lllS4_lllT4_llli,comdat
	.globl	_ZL24rocblas_symm_hemm_kernelILb0ELb0ELi32EdPKdPdEvbiiT2_T3_lllS4_lllT4_llli ; -- Begin function _ZL24rocblas_symm_hemm_kernelILb0ELb0ELi32EdPKdPdEvbiiT2_T3_lllS4_lllT4_llli
	.p2align	8
	.type	_ZL24rocblas_symm_hemm_kernelILb0ELb0ELi32EdPKdPdEvbiiT2_T3_lllS4_lllT4_llli,@function
_ZL24rocblas_symm_hemm_kernelILb0ELb0ELi32EdPKdPdEvbiiT2_T3_lllS4_lllT4_llli: ; @_ZL24rocblas_symm_hemm_kernelILb0ELb0ELi32EdPKdPdEvbiiT2_T3_lllS4_lllT4_llli
; %bb.0:
	s_load_dwordx16 s[12:27], s[4:5], 0x10
	s_waitcnt lgkmcnt(0)
	v_cmp_eq_f64_e64 s[0:1], s[12:13], 0
	s_and_b64 vcc, exec, s[0:1]
	s_cbranch_vccnz .LBB10_13
; %bb.1:
	s_load_dwordx4 s[28:31], s[4:5], 0x0
	s_waitcnt lgkmcnt(0)
	s_add_i32 s0, s30, -1
	s_ashr_i32 s1, s0, 31
	s_lshr_b32 s1, s1, 27
	s_add_i32 s0, s0, s1
	s_ashr_i32 s31, s0, 5
	s_cmp_gt_i32 s7, s31
	s_cbranch_scc1 .LBB10_13
; %bb.2:
	s_mul_i32 s0, s8, s21
	s_mul_hi_u32 s1, s8, s20
	s_load_dwordx8 s[36:43], s[4:5], 0x50
	s_add_i32 s1, s1, s0
	s_mul_i32 s0, s8, s20
	s_lshl_b64 s[0:1], s[0:1], 3
	s_add_u32 s2, s14, s0
	s_addc_u32 s3, s15, s1
	s_lshl_b64 s[0:1], s[16:17], 3
	s_add_u32 s16, s2, s0
	s_addc_u32 s17, s3, s1
	s_waitcnt lgkmcnt(0)
	s_mul_i32 s0, s8, s37
	s_mul_hi_u32 s1, s8, s36
	s_add_i32 s1, s1, s0
	s_mul_i32 s0, s8, s36
	s_lshl_b64 s[0:1], s[0:1], 3
	s_add_u32 s2, s22, s0
	s_addc_u32 s9, s23, s1
	s_lshl_b64 s[0:1], s[24:25], 3
	s_add_u32 s20, s2, s0
	s_load_dwordx2 s[2:3], s[4:5], 0x70
	s_load_dword s22, s[4:5], 0x84
	s_addc_u32 s21, s9, s1
	s_bitcmp1_b32 s28, 0
	s_cselect_b64 s[0:1], -1, 0
	s_waitcnt lgkmcnt(0)
	s_mul_i32 s3, s8, s3
	s_mul_hi_u32 s4, s8, s2
	s_add_i32 s3, s4, s3
	s_mul_i32 s2, s8, s2
	s_lshl_b64 s[2:3], s[2:3], 3
	s_add_u32 s4, s38, s2
	s_addc_u32 s5, s39, s3
	s_lshl_b64 s[2:3], s[40:41], 3
	v_and_b32_e32 v10, 0x3ff, v0
	s_add_u32 s4, s4, s2
	v_lshl_add_u32 v2, s6, 5, v10
	v_bfe_u32 v11, v0, 10, 10
	s_addc_u32 s5, s5, s3
	v_lshlrev_b32_e32 v0, 3, v11
	v_lshlrev_b32_e32 v12, 8, v10
	v_ashrrev_i32_e32 v3, 31, v2
	s_cmp_gt_i32 s29, 0
	v_add_u32_e32 v13, v12, v0
	v_or_b32_e32 v14, 0x2000, v0
	v_lshlrev_b64 v[0:1], 3, v[2:3]
	v_mov_b32_e32 v4, s5
	v_add_co_u32_e32 v3, vcc, s4, v0
	s_cselect_b64 s[4:5], -1, 0
	v_cndmask_b32_e64 v0, 0, 1, s[4:5]
	v_add_u32_e32 v15, v14, v12
	v_cmp_gt_i32_e64 s[2:3], s29, v2
	v_addc_co_u32_e32 v16, vcc, v4, v1, vcc
	v_cmp_ne_u32_e64 s[4:5], 1, v0
	v_add_u32_e32 v17, 0x800, v14
	v_add_u32_e32 v18, 0x1000, v14
	v_add_u32_e32 v19, 0x1800, v14
	s_branch .LBB10_4
.LBB10_3:                               ;   in Loop: Header=BB10_4 Depth=1
	s_add_i32 s7, s7, s22
	s_cmp_gt_i32 s7, s31
	s_cbranch_scc1 .LBB10_13
.LBB10_4:                               ; =>This Loop Header: Depth=1
                                        ;     Child Loop BB10_7 Depth 2
	s_and_b64 vcc, exec, s[4:5]
	s_cbranch_vccnz .LBB10_3
; %bb.5:                                ;   in Loop: Header=BB10_4 Depth=1
	v_lshl_add_u32 v4, s7, 5, v11
	v_ashrrev_i32_e32 v5, 31, v4
	v_mul_lo_u32 v6, v5, s26
	v_mul_lo_u32 v7, v4, s27
	v_mad_u64_u32 v[0:1], s[8:9], v4, s26, 0
	v_add3_u32 v1, v1, v7, v6
	v_lshlrev_b64 v[0:1], 3, v[0:1]
	v_mov_b32_e32 v6, s21
	v_add_co_u32_e64 v20, s[8:9], s20, v0
	v_addc_co_u32_e64 v21, s[8:9], v6, v1, s[8:9]
	v_mul_lo_u32 v5, v5, s42
	v_mul_lo_u32 v6, v4, s43
	v_mad_u64_u32 v[0:1], s[8:9], v4, s42, 0
	v_add3_u32 v1, v1, v6, v5
	v_lshlrev_b64 v[0:1], 3, v[0:1]
	v_cmp_gt_i32_e32 vcc, s30, v4
	v_add_co_u32_e64 v0, s[8:9], v3, v0
	s_and_b64 s[10:11], s[2:3], vcc
	v_addc_co_u32_e64 v1, s[8:9], v16, v1, s[8:9]
	s_mov_b32 s6, 0
	s_branch .LBB10_7
.LBB10_6:                               ;   in Loop: Header=BB10_7 Depth=2
	s_or_b64 exec, exec, s[8:9]
	s_add_i32 s6, s6, 32
	s_cmp_ge_i32 s6, s29
	s_barrier
	s_cbranch_scc1 .LBB10_3
.LBB10_7:                               ;   Parent Loop BB10_4 Depth=1
                                        ; =>  This Inner Loop Header: Depth=2
	v_add_u32_e32 v4, s6, v11
	v_cndmask_b32_e64 v5, v4, v2, s[0:1]
	v_cndmask_b32_e64 v6, v2, v4, s[0:1]
	v_cmp_gt_i32_e64 s[8:9], v5, v6
	v_cndmask_b32_e64 v6, v2, v4, s[8:9]
	v_cndmask_b32_e64 v7, v4, v2, s[8:9]
	v_max_i32_e32 v4, v6, v7
	v_cmp_gt_i32_e64 s[8:9], s29, v4
	v_pk_mov_b32 v[4:5], 0, 0
	v_pk_mov_b32 v[8:9], v[4:5], v[4:5] op_sel:[0,1]
	s_and_saveexec_b64 s[14:15], s[8:9]
	s_cbranch_execz .LBB10_9
; %bb.8:                                ;   in Loop: Header=BB10_7 Depth=2
	v_ashrrev_i32_e32 v8, 31, v7
	v_mul_lo_u32 v22, v7, s19
	v_mul_lo_u32 v23, v8, s18
	v_mad_u64_u32 v[8:9], s[8:9], v7, s18, 0
	v_add3_u32 v9, v9, v22, v23
	v_lshlrev_b64 v[8:9], 3, v[8:9]
	v_ashrrev_i32_e32 v7, 31, v6
	v_mov_b32_e32 v22, s17
	v_add_co_u32_e64 v8, s[8:9], s16, v8
	v_addc_co_u32_e64 v9, s[8:9], v22, v9, s[8:9]
	v_lshlrev_b64 v[6:7], 3, v[6:7]
	v_add_co_u32_e64 v6, s[8:9], v8, v6
	v_addc_co_u32_e64 v7, s[8:9], v9, v7, s[8:9]
	global_load_dwordx2 v[8:9], v[6:7], off
.LBB10_9:                               ;   in Loop: Header=BB10_7 Depth=2
	s_or_b64 exec, exec, s[14:15]
	v_add_u32_e32 v6, s6, v10
	v_cmp_gt_i32_e64 s[8:9], s29, v6
	s_and_b64 s[8:9], s[8:9], vcc
	s_waitcnt vmcnt(0)
	ds_write_b64 v13, v[8:9]
	s_and_saveexec_b64 s[14:15], s[8:9]
	s_cbranch_execz .LBB10_11
; %bb.10:                               ;   in Loop: Header=BB10_7 Depth=2
	v_ashrrev_i32_e32 v7, 31, v6
	v_lshlrev_b64 v[4:5], 3, v[6:7]
	v_add_co_u32_e64 v4, s[8:9], v20, v4
	v_addc_co_u32_e64 v5, s[8:9], v21, v5, s[8:9]
	global_load_dwordx2 v[4:5], v[4:5], off
.LBB10_11:                              ;   in Loop: Header=BB10_7 Depth=2
	s_or_b64 exec, exec, s[14:15]
	s_waitcnt vmcnt(0)
	ds_write_b64 v15, v[4:5]
	s_waitcnt lgkmcnt(0)
	s_barrier
	s_and_saveexec_b64 s[8:9], s[10:11]
	s_cbranch_execz .LBB10_6
; %bb.12:                               ;   in Loop: Header=BB10_7 Depth=2
	global_load_dwordx2 v[8:9], v[0:1], off
	ds_read2_b64 v[4:7], v14 offset1:32
	ds_read_b128 v[22:25], v12
	ds_read_b128 v[26:29], v12 offset:16
	ds_read2_b64 v[30:33], v14 offset0:64 offset1:96
	ds_read_b128 v[34:37], v12 offset:32
	ds_read_b128 v[38:41], v12 offset:48
	ds_read2_b64 v[42:45], v14 offset0:128 offset1:160
	s_waitcnt lgkmcnt(5)
	v_fma_f64 v[46:47], v[22:23], v[4:5], 0
	v_fmac_f64_e32 v[46:47], v[24:25], v[6:7]
	ds_read2_b64 v[4:7], v14 offset0:192 offset1:224
	s_waitcnt lgkmcnt(4)
	v_fmac_f64_e32 v[46:47], v[26:27], v[30:31]
	v_fmac_f64_e32 v[46:47], v[28:29], v[32:33]
	s_waitcnt lgkmcnt(1)
	v_fmac_f64_e32 v[46:47], v[34:35], v[42:43]
	v_fmac_f64_e32 v[46:47], v[36:37], v[44:45]
	ds_read2_b64 v[22:25], v17 offset1:32
	ds_read_b128 v[26:29], v12 offset:64
	s_waitcnt lgkmcnt(2)
	v_fmac_f64_e32 v[46:47], v[38:39], v[4:5]
	v_fmac_f64_e32 v[46:47], v[40:41], v[6:7]
	ds_read_b128 v[4:7], v12 offset:80
	ds_read2_b64 v[30:33], v17 offset0:64 offset1:96
	s_waitcnt lgkmcnt(2)
	v_fmac_f64_e32 v[46:47], v[26:27], v[22:23]
	v_fmac_f64_e32 v[46:47], v[28:29], v[24:25]
	ds_read2_b64 v[22:25], v17 offset0:128 offset1:160
	ds_read_b128 v[26:29], v12 offset:96
	s_waitcnt lgkmcnt(2)
	v_fmac_f64_e32 v[46:47], v[4:5], v[30:31]
	v_fmac_f64_e32 v[46:47], v[6:7], v[32:33]
	ds_read_b128 v[4:7], v12 offset:112
	ds_read2_b64 v[30:33], v17 offset0:192 offset1:224
	s_waitcnt lgkmcnt(2)
	v_fmac_f64_e32 v[46:47], v[26:27], v[22:23]
	v_fmac_f64_e32 v[46:47], v[28:29], v[24:25]
	ds_read2_b64 v[22:25], v18 offset1:32
	ds_read_b128 v[26:29], v12 offset:128
	s_waitcnt lgkmcnt(2)
	v_fmac_f64_e32 v[46:47], v[4:5], v[30:31]
	v_fmac_f64_e32 v[46:47], v[6:7], v[32:33]
	ds_read_b128 v[4:7], v12 offset:144
	ds_read2_b64 v[30:33], v18 offset0:64 offset1:96
	s_waitcnt lgkmcnt(2)
	v_fmac_f64_e32 v[46:47], v[26:27], v[22:23]
	v_fmac_f64_e32 v[46:47], v[28:29], v[24:25]
	ds_read2_b64 v[22:25], v18 offset0:128 offset1:160
	ds_read_b128 v[26:29], v12 offset:160
	s_waitcnt lgkmcnt(2)
	v_fmac_f64_e32 v[46:47], v[4:5], v[30:31]
	v_fmac_f64_e32 v[46:47], v[6:7], v[32:33]
	ds_read_b128 v[4:7], v12 offset:176
	ds_read2_b64 v[30:33], v18 offset0:192 offset1:224
	ds_read2_b64 v[34:37], v19 offset1:32
	ds_read_b128 v[38:41], v12 offset:192
	s_waitcnt lgkmcnt(4)
	v_fmac_f64_e32 v[46:47], v[26:27], v[22:23]
	v_fmac_f64_e32 v[46:47], v[28:29], v[24:25]
	s_waitcnt lgkmcnt(2)
	v_fmac_f64_e32 v[46:47], v[4:5], v[30:31]
	v_fmac_f64_e32 v[46:47], v[6:7], v[32:33]
	ds_read_b128 v[4:7], v12 offset:208
	s_waitcnt lgkmcnt(1)
	v_fmac_f64_e32 v[46:47], v[38:39], v[34:35]
	v_fmac_f64_e32 v[46:47], v[40:41], v[36:37]
	ds_read2_b64 v[22:25], v19 offset0:64 offset1:96
	ds_read2_b64 v[26:29], v19 offset0:128 offset1:160
	ds_read_b128 v[30:33], v12 offset:224
	ds_read_b128 v[34:37], v12 offset:240
	ds_read2_b64 v[38:41], v19 offset0:192 offset1:224
	s_waitcnt lgkmcnt(4)
	v_fmac_f64_e32 v[46:47], v[4:5], v[22:23]
	v_fmac_f64_e32 v[46:47], v[6:7], v[24:25]
	s_waitcnt lgkmcnt(2)
	v_fmac_f64_e32 v[46:47], v[30:31], v[26:27]
	v_fmac_f64_e32 v[46:47], v[32:33], v[28:29]
	;; [unrolled: 3-line block ×3, first 2 shown]
	s_waitcnt vmcnt(0)
	v_fmac_f64_e32 v[8:9], s[12:13], v[46:47]
	global_store_dwordx2 v[0:1], v[8:9], off
	s_branch .LBB10_6
.LBB10_13:
	s_endpgm
	.section	.rodata,"a",@progbits
	.p2align	6, 0x0
	.amdhsa_kernel _ZL24rocblas_symm_hemm_kernelILb0ELb0ELi32EdPKdPdEvbiiT2_T3_lllS4_lllT4_llli
		.amdhsa_group_segment_fixed_size 16384
		.amdhsa_private_segment_fixed_size 0
		.amdhsa_kernarg_size 384
		.amdhsa_user_sgpr_count 6
		.amdhsa_user_sgpr_private_segment_buffer 1
		.amdhsa_user_sgpr_dispatch_ptr 0
		.amdhsa_user_sgpr_queue_ptr 0
		.amdhsa_user_sgpr_kernarg_segment_ptr 1
		.amdhsa_user_sgpr_dispatch_id 0
		.amdhsa_user_sgpr_flat_scratch_init 0
		.amdhsa_user_sgpr_kernarg_preload_length 0
		.amdhsa_user_sgpr_kernarg_preload_offset 0
		.amdhsa_user_sgpr_private_segment_size 0
		.amdhsa_uses_dynamic_stack 0
		.amdhsa_system_sgpr_private_segment_wavefront_offset 0
		.amdhsa_system_sgpr_workgroup_id_x 1
		.amdhsa_system_sgpr_workgroup_id_y 1
		.amdhsa_system_sgpr_workgroup_id_z 1
		.amdhsa_system_sgpr_workgroup_info 0
		.amdhsa_system_vgpr_workitem_id 1
		.amdhsa_next_free_vgpr 48
		.amdhsa_next_free_sgpr 44
		.amdhsa_accum_offset 48
		.amdhsa_reserve_vcc 1
		.amdhsa_reserve_flat_scratch 0
		.amdhsa_float_round_mode_32 0
		.amdhsa_float_round_mode_16_64 0
		.amdhsa_float_denorm_mode_32 3
		.amdhsa_float_denorm_mode_16_64 3
		.amdhsa_dx10_clamp 1
		.amdhsa_ieee_mode 1
		.amdhsa_fp16_overflow 0
		.amdhsa_tg_split 0
		.amdhsa_exception_fp_ieee_invalid_op 0
		.amdhsa_exception_fp_denorm_src 0
		.amdhsa_exception_fp_ieee_div_zero 0
		.amdhsa_exception_fp_ieee_overflow 0
		.amdhsa_exception_fp_ieee_underflow 0
		.amdhsa_exception_fp_ieee_inexact 0
		.amdhsa_exception_int_div_zero 0
	.end_amdhsa_kernel
	.section	.text._ZL24rocblas_symm_hemm_kernelILb0ELb0ELi32EdPKdPdEvbiiT2_T3_lllS4_lllT4_llli,"axG",@progbits,_ZL24rocblas_symm_hemm_kernelILb0ELb0ELi32EdPKdPdEvbiiT2_T3_lllS4_lllT4_llli,comdat
.Lfunc_end10:
	.size	_ZL24rocblas_symm_hemm_kernelILb0ELb0ELi32EdPKdPdEvbiiT2_T3_lllS4_lllT4_llli, .Lfunc_end10-_ZL24rocblas_symm_hemm_kernelILb0ELb0ELi32EdPKdPdEvbiiT2_T3_lllS4_lllT4_llli
                                        ; -- End function
	.section	.AMDGPU.csdata,"",@progbits
; Kernel info:
; codeLenInByte = 1316
; NumSgprs: 48
; NumVgprs: 48
; NumAgprs: 0
; TotalNumVgprs: 48
; ScratchSize: 0
; MemoryBound: 0
; FloatMode: 240
; IeeeMode: 1
; LDSByteSize: 16384 bytes/workgroup (compile time only)
; SGPRBlocks: 5
; VGPRBlocks: 5
; NumSGPRsForWavesPerEU: 48
; NumVGPRsForWavesPerEU: 48
; AccumOffset: 48
; Occupancy: 8
; WaveLimiterHint : 0
; COMPUTE_PGM_RSRC2:SCRATCH_EN: 0
; COMPUTE_PGM_RSRC2:USER_SGPR: 6
; COMPUTE_PGM_RSRC2:TRAP_HANDLER: 0
; COMPUTE_PGM_RSRC2:TGID_X_EN: 1
; COMPUTE_PGM_RSRC2:TGID_Y_EN: 1
; COMPUTE_PGM_RSRC2:TGID_Z_EN: 1
; COMPUTE_PGM_RSRC2:TIDIG_COMP_CNT: 1
; COMPUTE_PGM_RSRC3_GFX90A:ACCUM_OFFSET: 11
; COMPUTE_PGM_RSRC3_GFX90A:TG_SPLIT: 0
	.section	.text._ZL24rocblas_symm_hemm_kernelILb0ELb1ELi32EdPKdPdEvbiiT2_T3_lllS4_lllT4_llli,"axG",@progbits,_ZL24rocblas_symm_hemm_kernelILb0ELb1ELi32EdPKdPdEvbiiT2_T3_lllS4_lllT4_llli,comdat
	.globl	_ZL24rocblas_symm_hemm_kernelILb0ELb1ELi32EdPKdPdEvbiiT2_T3_lllS4_lllT4_llli ; -- Begin function _ZL24rocblas_symm_hemm_kernelILb0ELb1ELi32EdPKdPdEvbiiT2_T3_lllS4_lllT4_llli
	.p2align	8
	.type	_ZL24rocblas_symm_hemm_kernelILb0ELb1ELi32EdPKdPdEvbiiT2_T3_lllS4_lllT4_llli,@function
_ZL24rocblas_symm_hemm_kernelILb0ELb1ELi32EdPKdPdEvbiiT2_T3_lllS4_lllT4_llli: ; @_ZL24rocblas_symm_hemm_kernelILb0ELb1ELi32EdPKdPdEvbiiT2_T3_lllS4_lllT4_llli
; %bb.0:
	s_load_dwordx16 s[12:27], s[4:5], 0x10
	s_waitcnt lgkmcnt(0)
	v_cmp_eq_f64_e64 s[0:1], s[12:13], 0
	s_and_b64 vcc, exec, s[0:1]
	s_cbranch_vccnz .LBB11_13
; %bb.1:
	s_load_dwordx4 s[28:31], s[4:5], 0x0
	s_waitcnt lgkmcnt(0)
	s_add_i32 s0, s30, -1
	s_ashr_i32 s1, s0, 31
	s_lshr_b32 s1, s1, 27
	s_add_i32 s0, s0, s1
	s_ashr_i32 s31, s0, 5
	s_cmp_gt_i32 s7, s31
	s_cbranch_scc1 .LBB11_13
; %bb.2:
	s_mul_i32 s0, s8, s21
	s_mul_hi_u32 s1, s8, s20
	s_add_i32 s1, s1, s0
	s_mul_i32 s0, s8, s20
	s_lshl_b64 s[0:1], s[0:1], 3
	s_add_u32 s2, s14, s0
	s_addc_u32 s3, s15, s1
	s_lshl_b64 s[0:1], s[16:17], 3
	s_add_u32 s14, s2, s0
	s_addc_u32 s15, s3, s1
	s_load_dwordx2 s[2:3], s[4:5], 0x70
	s_load_dwordx8 s[36:43], s[4:5], 0x50
	s_load_dword s16, s[4:5], 0x84
	s_bitcmp1_b32 s28, 0
	s_cselect_b64 s[0:1], -1, 0
	v_and_b32_e32 v6, 0x3ff, v0
	s_waitcnt lgkmcnt(0)
	s_mul_i32 s3, s8, s3
	s_mul_hi_u32 s4, s8, s2
	s_add_i32 s3, s4, s3
	s_mul_i32 s2, s8, s2
	s_lshl_b64 s[2:3], s[2:3], 3
	s_add_u32 s4, s38, s2
	s_addc_u32 s5, s39, s3
	s_lshl_b64 s[2:3], s[40:41], 3
	s_add_u32 s4, s4, s2
	s_addc_u32 s5, s5, s3
	s_mul_i32 s2, s8, s37
	s_mul_hi_u32 s3, s8, s36
	s_add_i32 s3, s3, s2
	s_mul_i32 s2, s8, s36
	s_lshl_b64 s[2:3], s[2:3], 3
	s_add_u32 s8, s22, s2
	s_addc_u32 s9, s23, s3
	s_lshl_b64 s[2:3], s[24:25], 3
	v_lshl_add_u32 v2, s6, 5, v6
	s_add_u32 s8, s8, s2
	v_ashrrev_i32_e32 v3, 31, v2
	s_addc_u32 s9, s9, s3
	v_bfe_u32 v7, v0, 10, 10
	v_lshlrev_b64 v[0:1], 3, v[2:3]
	v_cmp_gt_i32_e64 s[2:3], s29, v2
	v_mov_b32_e32 v2, s9
	v_add_co_u32_e32 v8, vcc, s8, v0
	s_cmp_gt_i32 s30, 0
	v_addc_co_u32_e32 v9, vcc, v2, v1, vcc
	v_lshlrev_b32_e32 v2, 3, v7
	v_lshlrev_b32_e32 v10, 8, v6
	v_add_u32_e32 v11, v10, v2
	v_or_b32_e32 v12, 0x2000, v2
	v_mov_b32_e32 v2, s5
	v_add_co_u32_e32 v14, vcc, s4, v0
	s_cselect_b64 s[4:5], -1, 0
	v_cndmask_b32_e64 v0, 0, 1, s[4:5]
	v_add_u32_e32 v13, v12, v10
	v_addc_co_u32_e32 v15, vcc, v2, v1, vcc
	v_cmp_ne_u32_e64 s[4:5], 1, v0
	v_add_u32_e32 v16, 0x800, v12
	v_add_u32_e32 v17, 0x1000, v12
	;; [unrolled: 1-line block ×3, first 2 shown]
	s_branch .LBB11_4
.LBB11_3:                               ;   in Loop: Header=BB11_4 Depth=1
	s_add_i32 s7, s7, s16
	s_cmp_gt_i32 s7, s31
	s_cbranch_scc1 .LBB11_13
.LBB11_4:                               ; =>This Loop Header: Depth=1
                                        ;     Child Loop BB11_7 Depth 2
	s_and_b64 vcc, exec, s[4:5]
	s_cbranch_vccnz .LBB11_3
; %bb.5:                                ;   in Loop: Header=BB11_4 Depth=1
	v_lshl_add_u32 v19, s7, 5, v7
	v_ashrrev_i32_e32 v0, 31, v19
	v_mul_lo_u32 v2, v0, s42
	v_mul_lo_u32 v3, v19, s43
	v_mad_u64_u32 v[0:1], s[10:11], v19, s42, 0
	v_add3_u32 v1, v1, v3, v2
	v_cmp_gt_i32_e32 vcc, s30, v19
	v_lshlrev_b64 v[0:1], 3, v[0:1]
	s_and_b64 s[8:9], s[2:3], vcc
	v_add_co_u32_e32 v0, vcc, v14, v0
	v_addc_co_u32_e32 v1, vcc, v15, v1, vcc
	s_mov_b32 s6, 0
	s_branch .LBB11_7
.LBB11_6:                               ;   in Loop: Header=BB11_7 Depth=2
	s_or_b64 exec, exec, s[10:11]
	s_add_i32 s6, s6, 32
	s_cmp_ge_i32 s6, s30
	s_barrier
	s_cbranch_scc1 .LBB11_3
.LBB11_7:                               ;   Parent Loop BB11_4 Depth=1
                                        ; =>  This Inner Loop Header: Depth=2
	v_add_u32_e32 v20, s6, v7
	v_cmp_gt_i32_e32 vcc, s30, v20
	v_pk_mov_b32 v[2:3], 0, 0
	s_and_b64 s[20:21], s[2:3], vcc
	v_pk_mov_b32 v[4:5], v[2:3], v[2:3] op_sel:[0,1]
	s_and_saveexec_b64 s[10:11], s[20:21]
	s_cbranch_execz .LBB11_9
; %bb.8:                                ;   in Loop: Header=BB11_7 Depth=2
	v_ashrrev_i32_e32 v4, 31, v20
	v_mul_lo_u32 v21, v20, s27
	v_mul_lo_u32 v22, v4, s26
	v_mad_u64_u32 v[4:5], s[20:21], v20, s26, 0
	v_add3_u32 v5, v5, v21, v22
	v_lshlrev_b64 v[4:5], 3, v[4:5]
	v_add_co_u32_e32 v4, vcc, v8, v4
	v_addc_co_u32_e32 v5, vcc, v9, v5, vcc
	global_load_dwordx2 v[4:5], v[4:5], off
.LBB11_9:                               ;   in Loop: Header=BB11_7 Depth=2
	s_or_b64 exec, exec, s[10:11]
	s_waitcnt vmcnt(0)
	ds_write_b64 v11, v[4:5]
	v_add_u32_e32 v5, s6, v6
	v_cndmask_b32_e64 v4, v19, v5, s[0:1]
	v_cndmask_b32_e64 v20, v5, v19, s[0:1]
	v_cmp_gt_i32_e32 vcc, v4, v20
	v_cndmask_b32_e32 v4, v5, v19, vcc
	v_cndmask_b32_e32 v5, v19, v5, vcc
	v_max_i32_e32 v20, v4, v5
	v_cmp_gt_i32_e32 vcc, s30, v20
	s_and_saveexec_b64 s[10:11], vcc
	s_cbranch_execz .LBB11_11
; %bb.10:                               ;   in Loop: Header=BB11_7 Depth=2
	v_ashrrev_i32_e32 v2, 31, v5
	v_mul_lo_u32 v20, v5, s19
	v_mul_lo_u32 v21, v2, s18
	v_mad_u64_u32 v[2:3], s[20:21], v5, s18, 0
	v_add3_u32 v3, v3, v20, v21
	v_lshlrev_b64 v[2:3], 3, v[2:3]
	v_ashrrev_i32_e32 v5, 31, v4
	v_mov_b32_e32 v20, s15
	v_add_co_u32_e32 v21, vcc, s14, v2
	v_addc_co_u32_e32 v20, vcc, v20, v3, vcc
	v_lshlrev_b64 v[2:3], 3, v[4:5]
	v_add_co_u32_e32 v2, vcc, v21, v2
	v_addc_co_u32_e32 v3, vcc, v20, v3, vcc
	global_load_dwordx2 v[2:3], v[2:3], off
.LBB11_11:                              ;   in Loop: Header=BB11_7 Depth=2
	s_or_b64 exec, exec, s[10:11]
	s_waitcnt vmcnt(0)
	ds_write_b64 v13, v[2:3]
	s_waitcnt lgkmcnt(0)
	s_barrier
	s_and_saveexec_b64 s[10:11], s[8:9]
	s_cbranch_execz .LBB11_6
; %bb.12:                               ;   in Loop: Header=BB11_7 Depth=2
	global_load_dwordx2 v[44:45], v[0:1], off
	ds_read2_b64 v[2:5], v12 offset1:32
	ds_read_b128 v[20:23], v10
	ds_read_b128 v[24:27], v10 offset:16
	ds_read2_b64 v[28:31], v12 offset0:64 offset1:96
	ds_read_b128 v[32:35], v10 offset:32
	ds_read_b128 v[36:39], v10 offset:48
	ds_read2_b64 v[40:43], v12 offset0:128 offset1:160
	s_waitcnt lgkmcnt(5)
	v_fma_f64 v[46:47], v[20:21], v[2:3], 0
	v_fmac_f64_e32 v[46:47], v[22:23], v[4:5]
	ds_read2_b64 v[2:5], v12 offset0:192 offset1:224
	s_waitcnt lgkmcnt(4)
	v_fmac_f64_e32 v[46:47], v[24:25], v[28:29]
	v_fmac_f64_e32 v[46:47], v[26:27], v[30:31]
	s_waitcnt lgkmcnt(1)
	v_fmac_f64_e32 v[46:47], v[32:33], v[40:41]
	v_fmac_f64_e32 v[46:47], v[34:35], v[42:43]
	ds_read2_b64 v[20:23], v16 offset1:32
	ds_read_b128 v[24:27], v10 offset:64
	s_waitcnt lgkmcnt(2)
	v_fmac_f64_e32 v[46:47], v[36:37], v[2:3]
	v_fmac_f64_e32 v[46:47], v[38:39], v[4:5]
	ds_read_b128 v[2:5], v10 offset:80
	ds_read2_b64 v[28:31], v16 offset0:64 offset1:96
	s_waitcnt lgkmcnt(2)
	v_fmac_f64_e32 v[46:47], v[24:25], v[20:21]
	v_fmac_f64_e32 v[46:47], v[26:27], v[22:23]
	ds_read2_b64 v[20:23], v16 offset0:128 offset1:160
	ds_read_b128 v[24:27], v10 offset:96
	s_waitcnt lgkmcnt(2)
	v_fmac_f64_e32 v[46:47], v[2:3], v[28:29]
	v_fmac_f64_e32 v[46:47], v[4:5], v[30:31]
	ds_read_b128 v[2:5], v10 offset:112
	ds_read2_b64 v[28:31], v16 offset0:192 offset1:224
	s_waitcnt lgkmcnt(2)
	v_fmac_f64_e32 v[46:47], v[24:25], v[20:21]
	v_fmac_f64_e32 v[46:47], v[26:27], v[22:23]
	ds_read2_b64 v[20:23], v17 offset1:32
	ds_read_b128 v[24:27], v10 offset:128
	s_waitcnt lgkmcnt(2)
	v_fmac_f64_e32 v[46:47], v[2:3], v[28:29]
	v_fmac_f64_e32 v[46:47], v[4:5], v[30:31]
	ds_read_b128 v[2:5], v10 offset:144
	ds_read2_b64 v[28:31], v17 offset0:64 offset1:96
	s_waitcnt lgkmcnt(2)
	v_fmac_f64_e32 v[46:47], v[24:25], v[20:21]
	v_fmac_f64_e32 v[46:47], v[26:27], v[22:23]
	ds_read2_b64 v[20:23], v17 offset0:128 offset1:160
	ds_read_b128 v[24:27], v10 offset:160
	s_waitcnt lgkmcnt(2)
	v_fmac_f64_e32 v[46:47], v[2:3], v[28:29]
	v_fmac_f64_e32 v[46:47], v[4:5], v[30:31]
	ds_read_b128 v[2:5], v10 offset:176
	ds_read2_b64 v[28:31], v17 offset0:192 offset1:224
	ds_read2_b64 v[32:35], v18 offset1:32
	ds_read_b128 v[36:39], v10 offset:192
	s_waitcnt lgkmcnt(4)
	v_fmac_f64_e32 v[46:47], v[24:25], v[20:21]
	v_fmac_f64_e32 v[46:47], v[26:27], v[22:23]
	s_waitcnt lgkmcnt(2)
	v_fmac_f64_e32 v[46:47], v[2:3], v[28:29]
	v_fmac_f64_e32 v[46:47], v[4:5], v[30:31]
	ds_read_b128 v[2:5], v10 offset:208
	s_waitcnt lgkmcnt(1)
	v_fmac_f64_e32 v[46:47], v[36:37], v[32:33]
	v_fmac_f64_e32 v[46:47], v[38:39], v[34:35]
	ds_read2_b64 v[20:23], v18 offset0:64 offset1:96
	ds_read2_b64 v[24:27], v18 offset0:128 offset1:160
	ds_read_b128 v[28:31], v10 offset:224
	ds_read_b128 v[32:35], v10 offset:240
	ds_read2_b64 v[36:39], v18 offset0:192 offset1:224
	s_waitcnt lgkmcnt(4)
	v_fmac_f64_e32 v[46:47], v[2:3], v[20:21]
	v_fmac_f64_e32 v[46:47], v[4:5], v[22:23]
	s_waitcnt lgkmcnt(2)
	v_fmac_f64_e32 v[46:47], v[28:29], v[24:25]
	v_fmac_f64_e32 v[46:47], v[30:31], v[26:27]
	;; [unrolled: 3-line block ×3, first 2 shown]
	s_waitcnt vmcnt(0)
	v_fmac_f64_e32 v[44:45], s[12:13], v[46:47]
	global_store_dwordx2 v[0:1], v[44:45], off
	s_branch .LBB11_6
.LBB11_13:
	s_endpgm
	.section	.rodata,"a",@progbits
	.p2align	6, 0x0
	.amdhsa_kernel _ZL24rocblas_symm_hemm_kernelILb0ELb1ELi32EdPKdPdEvbiiT2_T3_lllS4_lllT4_llli
		.amdhsa_group_segment_fixed_size 16384
		.amdhsa_private_segment_fixed_size 0
		.amdhsa_kernarg_size 384
		.amdhsa_user_sgpr_count 6
		.amdhsa_user_sgpr_private_segment_buffer 1
		.amdhsa_user_sgpr_dispatch_ptr 0
		.amdhsa_user_sgpr_queue_ptr 0
		.amdhsa_user_sgpr_kernarg_segment_ptr 1
		.amdhsa_user_sgpr_dispatch_id 0
		.amdhsa_user_sgpr_flat_scratch_init 0
		.amdhsa_user_sgpr_kernarg_preload_length 0
		.amdhsa_user_sgpr_kernarg_preload_offset 0
		.amdhsa_user_sgpr_private_segment_size 0
		.amdhsa_uses_dynamic_stack 0
		.amdhsa_system_sgpr_private_segment_wavefront_offset 0
		.amdhsa_system_sgpr_workgroup_id_x 1
		.amdhsa_system_sgpr_workgroup_id_y 1
		.amdhsa_system_sgpr_workgroup_id_z 1
		.amdhsa_system_sgpr_workgroup_info 0
		.amdhsa_system_vgpr_workitem_id 1
		.amdhsa_next_free_vgpr 48
		.amdhsa_next_free_sgpr 44
		.amdhsa_accum_offset 48
		.amdhsa_reserve_vcc 1
		.amdhsa_reserve_flat_scratch 0
		.amdhsa_float_round_mode_32 0
		.amdhsa_float_round_mode_16_64 0
		.amdhsa_float_denorm_mode_32 3
		.amdhsa_float_denorm_mode_16_64 3
		.amdhsa_dx10_clamp 1
		.amdhsa_ieee_mode 1
		.amdhsa_fp16_overflow 0
		.amdhsa_tg_split 0
		.amdhsa_exception_fp_ieee_invalid_op 0
		.amdhsa_exception_fp_denorm_src 0
		.amdhsa_exception_fp_ieee_div_zero 0
		.amdhsa_exception_fp_ieee_overflow 0
		.amdhsa_exception_fp_ieee_underflow 0
		.amdhsa_exception_fp_ieee_inexact 0
		.amdhsa_exception_int_div_zero 0
	.end_amdhsa_kernel
	.section	.text._ZL24rocblas_symm_hemm_kernelILb0ELb1ELi32EdPKdPdEvbiiT2_T3_lllS4_lllT4_llli,"axG",@progbits,_ZL24rocblas_symm_hemm_kernelILb0ELb1ELi32EdPKdPdEvbiiT2_T3_lllS4_lllT4_llli,comdat
.Lfunc_end11:
	.size	_ZL24rocblas_symm_hemm_kernelILb0ELb1ELi32EdPKdPdEvbiiT2_T3_lllS4_lllT4_llli, .Lfunc_end11-_ZL24rocblas_symm_hemm_kernelILb0ELb1ELi32EdPKdPdEvbiiT2_T3_lllS4_lllT4_llli
                                        ; -- End function
	.section	.AMDGPU.csdata,"",@progbits
; Kernel info:
; codeLenInByte = 1244
; NumSgprs: 48
; NumVgprs: 48
; NumAgprs: 0
; TotalNumVgprs: 48
; ScratchSize: 0
; MemoryBound: 0
; FloatMode: 240
; IeeeMode: 1
; LDSByteSize: 16384 bytes/workgroup (compile time only)
; SGPRBlocks: 5
; VGPRBlocks: 5
; NumSGPRsForWavesPerEU: 48
; NumVGPRsForWavesPerEU: 48
; AccumOffset: 48
; Occupancy: 8
; WaveLimiterHint : 0
; COMPUTE_PGM_RSRC2:SCRATCH_EN: 0
; COMPUTE_PGM_RSRC2:USER_SGPR: 6
; COMPUTE_PGM_RSRC2:TRAP_HANDLER: 0
; COMPUTE_PGM_RSRC2:TGID_X_EN: 1
; COMPUTE_PGM_RSRC2:TGID_Y_EN: 1
; COMPUTE_PGM_RSRC2:TGID_Z_EN: 1
; COMPUTE_PGM_RSRC2:TIDIG_COMP_CNT: 1
; COMPUTE_PGM_RSRC3_GFX90A:ACCUM_OFFSET: 11
; COMPUTE_PGM_RSRC3_GFX90A:TG_SPLIT: 0
	.section	.text._ZL25rocblas_symm_scale_kernelILi128ELi8EPK19rocblas_complex_numIfEPS1_EviiT1_T2_llli,"axG",@progbits,_ZL25rocblas_symm_scale_kernelILi128ELi8EPK19rocblas_complex_numIfEPS1_EviiT1_T2_llli,comdat
	.globl	_ZL25rocblas_symm_scale_kernelILi128ELi8EPK19rocblas_complex_numIfEPS1_EviiT1_T2_llli ; -- Begin function _ZL25rocblas_symm_scale_kernelILi128ELi8EPK19rocblas_complex_numIfEPS1_EviiT1_T2_llli
	.p2align	8
	.type	_ZL25rocblas_symm_scale_kernelILi128ELi8EPK19rocblas_complex_numIfEPS1_EviiT1_T2_llli,@function
_ZL25rocblas_symm_scale_kernelILi128ELi8EPK19rocblas_complex_numIfEPS1_EviiT1_T2_llli: ; @_ZL25rocblas_symm_scale_kernelILi128ELi8EPK19rocblas_complex_numIfEPS1_EviiT1_T2_llli
; %bb.0:
	s_load_dwordx8 s[12:19], s[4:5], 0x8
	s_waitcnt lgkmcnt(0)
	s_load_dwordx2 s[2:3], s[12:13], 0x0
	s_waitcnt lgkmcnt(0)
	v_cmp_eq_f32_e64 s[0:1], s2, 1.0
	v_cmp_eq_f32_e64 s[10:11], s3, 0
	s_and_b64 s[0:1], s[0:1], s[10:11]
	s_and_b64 vcc, exec, s[0:1]
	s_cbranch_vccnz .LBB12_6
; %bb.1:
	s_load_dwordx2 s[0:1], s[4:5], 0x0
	v_and_b32_e32 v1, 0x3ff, v0
	v_bfe_u32 v0, v0, 10, 10
	v_lshl_add_u32 v2, s6, 7, v1
	v_lshl_add_u32 v0, s7, 3, v0
	v_mov_b32_e32 v1, 0
	s_waitcnt lgkmcnt(0)
	s_ashr_i32 s7, s1, 31
	s_mov_b32 s6, s1
	v_cmp_gt_u32_e32 vcc, s0, v2
	v_cmp_gt_i64_e64 s[0:1], s[6:7], v[0:1]
	s_and_b64 s[0:1], vcc, s[0:1]
	s_and_saveexec_b64 s[10:11], s[0:1]
	s_cbranch_execz .LBB12_6
; %bb.2:
	s_or_b32 s0, s2, s3
	s_mov_b32 s10, s3
	s_and_b32 s3, s0, 0x7fffffff
	s_load_dwordx2 s[0:1], s[4:5], 0x28
	s_load_dword s9, s[4:5], 0x3c
	s_cmp_lg_u32 s3, 0
	s_cselect_b64 s[12:13], -1, 0
	v_mov_b32_e32 v3, v1
	s_waitcnt lgkmcnt(0)
	s_mul_i32 s1, s1, s8
	s_mul_hi_u32 s4, s0, s8
	s_add_i32 s1, s4, s1
	v_mad_u64_u32 v[4:5], s[4:5], s18, v0, 0
	v_mov_b32_e32 v6, v5
	s_mul_i32 s0, s0, s8
	v_mad_u64_u32 v[6:7], s[4:5], s19, v0, v[6:7]
	s_lshl_b32 s3, s9, 3
	s_lshl_b64 s[0:1], s[0:1], 3
	s_lshl_b64 s[4:5], s[16:17], 3
	v_mov_b32_e32 v5, v6
	s_add_u32 s0, s4, s0
	v_lshlrev_b64 v[4:5], 3, v[4:5]
	s_addc_u32 s1, s5, s1
	v_mov_b32_e32 v6, s1
	v_add_co_u32_e32 v4, vcc, s0, v4
	v_addc_co_u32_e32 v5, vcc, v6, v5, vcc
	v_lshlrev_b64 v[2:3], 3, v[2:3]
	v_add_co_u32_e32 v2, vcc, v4, v2
	v_addc_co_u32_e32 v3, vcc, v5, v3, vcc
	v_mov_b32_e32 v4, s15
	v_add_co_u32_e32 v2, vcc, s14, v2
	s_mul_i32 s0, s19, s3
	s_mul_hi_u32 s1, s18, s3
	v_addc_co_u32_e32 v3, vcc, v3, v4, vcc
	s_add_i32 s1, s1, s0
	s_mul_i32 s0, s18, s3
	s_mov_b32 s20, 0
	v_add_co_u32_e32 v2, vcc, 4, v2
	s_lshl_b64 s[4:5], s[0:1], 3
	v_cndmask_b32_e64 v4, 0, 1, s[12:13]
	s_mov_b32 s11, s2
	v_addc_co_u32_e32 v3, vcc, 0, v3, vcc
	s_mov_b64 s[8:9], 0
	v_cmp_ne_u32_e64 s[0:1], 1, v4
	v_mov_b32_e32 v6, s20
	v_mov_b32_e32 v7, s5
	s_branch .LBB12_4
.LBB12_3:                               ;   in Loop: Header=BB12_4 Depth=1
	v_add_co_u32_e32 v0, vcc, s3, v0
	v_addc_co_u32_e32 v1, vcc, v1, v6, vcc
	v_cmp_le_i64_e32 vcc, s[6:7], v[0:1]
	global_store_dwordx2 v[2:3], v[4:5], off offset:-4
	s_or_b64 s[8:9], vcc, s[8:9]
	v_add_co_u32_e32 v2, vcc, s4, v2
	v_addc_co_u32_e32 v3, vcc, v3, v7, vcc
	s_andn2_b64 exec, exec, s[8:9]
	s_cbranch_execz .LBB12_6
.LBB12_4:                               ; =>This Inner Loop Header: Depth=1
	s_and_b64 vcc, exec, s[0:1]
	v_mov_b32_e32 v5, 0
	v_mov_b32_e32 v4, 0
	s_cbranch_vccnz .LBB12_3
; %bb.5:                                ;   in Loop: Header=BB12_4 Depth=1
	global_load_dwordx2 v[4:5], v[2:3], off offset:-4
	s_waitcnt vmcnt(0)
	v_mul_f32_e32 v10, s2, v4
	v_pk_mul_f32 v[8:9], v[4:5], s[10:11]
	v_fma_f32 v4, -v5, s10, v10
	v_add_f32_e32 v5, v8, v9
	s_branch .LBB12_3
.LBB12_6:
	s_endpgm
	.section	.rodata,"a",@progbits
	.p2align	6, 0x0
	.amdhsa_kernel _ZL25rocblas_symm_scale_kernelILi128ELi8EPK19rocblas_complex_numIfEPS1_EviiT1_T2_llli
		.amdhsa_group_segment_fixed_size 0
		.amdhsa_private_segment_fixed_size 0
		.amdhsa_kernarg_size 312
		.amdhsa_user_sgpr_count 6
		.amdhsa_user_sgpr_private_segment_buffer 1
		.amdhsa_user_sgpr_dispatch_ptr 0
		.amdhsa_user_sgpr_queue_ptr 0
		.amdhsa_user_sgpr_kernarg_segment_ptr 1
		.amdhsa_user_sgpr_dispatch_id 0
		.amdhsa_user_sgpr_flat_scratch_init 0
		.amdhsa_user_sgpr_kernarg_preload_length 0
		.amdhsa_user_sgpr_kernarg_preload_offset 0
		.amdhsa_user_sgpr_private_segment_size 0
		.amdhsa_uses_dynamic_stack 0
		.amdhsa_system_sgpr_private_segment_wavefront_offset 0
		.amdhsa_system_sgpr_workgroup_id_x 1
		.amdhsa_system_sgpr_workgroup_id_y 1
		.amdhsa_system_sgpr_workgroup_id_z 1
		.amdhsa_system_sgpr_workgroup_info 0
		.amdhsa_system_vgpr_workitem_id 1
		.amdhsa_next_free_vgpr 11
		.amdhsa_next_free_sgpr 21
		.amdhsa_accum_offset 12
		.amdhsa_reserve_vcc 1
		.amdhsa_reserve_flat_scratch 0
		.amdhsa_float_round_mode_32 0
		.amdhsa_float_round_mode_16_64 0
		.amdhsa_float_denorm_mode_32 3
		.amdhsa_float_denorm_mode_16_64 3
		.amdhsa_dx10_clamp 1
		.amdhsa_ieee_mode 1
		.amdhsa_fp16_overflow 0
		.amdhsa_tg_split 0
		.amdhsa_exception_fp_ieee_invalid_op 0
		.amdhsa_exception_fp_denorm_src 0
		.amdhsa_exception_fp_ieee_div_zero 0
		.amdhsa_exception_fp_ieee_overflow 0
		.amdhsa_exception_fp_ieee_underflow 0
		.amdhsa_exception_fp_ieee_inexact 0
		.amdhsa_exception_int_div_zero 0
	.end_amdhsa_kernel
	.section	.text._ZL25rocblas_symm_scale_kernelILi128ELi8EPK19rocblas_complex_numIfEPS1_EviiT1_T2_llli,"axG",@progbits,_ZL25rocblas_symm_scale_kernelILi128ELi8EPK19rocblas_complex_numIfEPS1_EviiT1_T2_llli,comdat
.Lfunc_end12:
	.size	_ZL25rocblas_symm_scale_kernelILi128ELi8EPK19rocblas_complex_numIfEPS1_EviiT1_T2_llli, .Lfunc_end12-_ZL25rocblas_symm_scale_kernelILi128ELi8EPK19rocblas_complex_numIfEPS1_EviiT1_T2_llli
                                        ; -- End function
	.section	.AMDGPU.csdata,"",@progbits
; Kernel info:
; codeLenInByte = 456
; NumSgprs: 25
; NumVgprs: 11
; NumAgprs: 0
; TotalNumVgprs: 11
; ScratchSize: 0
; MemoryBound: 0
; FloatMode: 240
; IeeeMode: 1
; LDSByteSize: 0 bytes/workgroup (compile time only)
; SGPRBlocks: 3
; VGPRBlocks: 1
; NumSGPRsForWavesPerEU: 25
; NumVGPRsForWavesPerEU: 11
; AccumOffset: 12
; Occupancy: 8
; WaveLimiterHint : 0
; COMPUTE_PGM_RSRC2:SCRATCH_EN: 0
; COMPUTE_PGM_RSRC2:USER_SGPR: 6
; COMPUTE_PGM_RSRC2:TRAP_HANDLER: 0
; COMPUTE_PGM_RSRC2:TGID_X_EN: 1
; COMPUTE_PGM_RSRC2:TGID_Y_EN: 1
; COMPUTE_PGM_RSRC2:TGID_Z_EN: 1
; COMPUTE_PGM_RSRC2:TIDIG_COMP_CNT: 1
; COMPUTE_PGM_RSRC3_GFX90A:ACCUM_OFFSET: 2
; COMPUTE_PGM_RSRC3_GFX90A:TG_SPLIT: 0
	.section	.text._ZL24rocblas_symm_hemm_kernelILb0ELb0ELi32EPK19rocblas_complex_numIfES3_PS1_EvbiiT2_T3_lllS6_lllT4_llli,"axG",@progbits,_ZL24rocblas_symm_hemm_kernelILb0ELb0ELi32EPK19rocblas_complex_numIfES3_PS1_EvbiiT2_T3_lllS6_lllT4_llli,comdat
	.globl	_ZL24rocblas_symm_hemm_kernelILb0ELb0ELi32EPK19rocblas_complex_numIfES3_PS1_EvbiiT2_T3_lllS6_lllT4_llli ; -- Begin function _ZL24rocblas_symm_hemm_kernelILb0ELb0ELi32EPK19rocblas_complex_numIfES3_PS1_EvbiiT2_T3_lllS6_lllT4_llli
	.p2align	8
	.type	_ZL24rocblas_symm_hemm_kernelILb0ELb0ELi32EPK19rocblas_complex_numIfES3_PS1_EvbiiT2_T3_lllS6_lllT4_llli,@function
_ZL24rocblas_symm_hemm_kernelILb0ELb0ELi32EPK19rocblas_complex_numIfES3_PS1_EvbiiT2_T3_lllS6_lllT4_llli: ; @_ZL24rocblas_symm_hemm_kernelILb0ELb0ELi32EPK19rocblas_complex_numIfES3_PS1_EvbiiT2_T3_lllS6_lllT4_llli
; %bb.0:
	s_load_dwordx16 s[12:27], s[4:5], 0x10
	s_waitcnt lgkmcnt(0)
	s_load_dwordx2 s[10:11], s[12:13], 0x0
	s_waitcnt lgkmcnt(0)
	v_cmp_eq_f32_e64 s[0:1], s10, 0
	v_cmp_eq_f32_e64 s[2:3], s11, 0
	s_and_b64 s[0:1], s[0:1], s[2:3]
	s_and_b64 vcc, exec, s[0:1]
	s_cbranch_vccnz .LBB13_13
; %bb.1:
	s_load_dwordx4 s[28:31], s[4:5], 0x0
	s_waitcnt lgkmcnt(0)
	s_add_i32 s0, s30, -1
	s_ashr_i32 s1, s0, 31
	s_lshr_b32 s1, s1, 27
	s_add_i32 s0, s0, s1
	s_ashr_i32 s31, s0, 5
	s_cmp_gt_i32 s7, s31
	s_cbranch_scc1 .LBB13_13
; %bb.2:
	s_mul_i32 s0, s8, s21
	s_mul_hi_u32 s1, s8, s20
	s_load_dwordx8 s[36:43], s[4:5], 0x50
	s_add_i32 s1, s1, s0
	s_mul_i32 s0, s8, s20
	s_lshl_b64 s[0:1], s[0:1], 3
	s_add_u32 s2, s14, s0
	s_addc_u32 s3, s15, s1
	s_lshl_b64 s[0:1], s[16:17], 3
	s_add_u32 s16, s2, s0
	s_addc_u32 s17, s3, s1
	s_waitcnt lgkmcnt(0)
	s_mul_i32 s0, s8, s37
	s_mul_hi_u32 s1, s8, s36
	s_add_i32 s1, s1, s0
	s_mul_i32 s0, s8, s36
	s_lshl_b64 s[0:1], s[0:1], 3
	s_add_u32 s2, s22, s0
	s_addc_u32 s9, s23, s1
	s_lshl_b64 s[0:1], s[24:25], 3
	s_add_u32 s20, s2, s0
	s_load_dwordx2 s[2:3], s[4:5], 0x70
	s_load_dword s22, s[4:5], 0x84
	s_addc_u32 s21, s9, s1
	s_bitcmp1_b32 s28, 0
	s_cselect_b64 s[0:1], -1, 0
	s_waitcnt lgkmcnt(0)
	s_mul_i32 s3, s8, s3
	s_mul_hi_u32 s4, s8, s2
	s_add_i32 s3, s4, s3
	s_mul_i32 s2, s8, s2
	s_lshl_b64 s[2:3], s[2:3], 3
	s_add_u32 s4, s38, s2
	s_addc_u32 s5, s39, s3
	s_lshl_b64 s[2:3], s[40:41], 3
	v_and_b32_e32 v12, 0x3ff, v0
	s_add_u32 s4, s4, s2
	v_lshl_add_u32 v8, s6, 5, v12
	v_bfe_u32 v13, v0, 10, 10
	s_addc_u32 s5, s5, s3
	v_lshlrev_b32_e32 v0, 3, v13
	v_lshlrev_b32_e32 v14, 8, v12
	v_ashrrev_i32_e32 v9, 31, v8
	s_cmp_gt_i32 s29, 0
	v_add_u32_e32 v15, v14, v0
	v_or_b32_e32 v16, 0x2000, v0
	v_lshlrev_b64 v[0:1], 3, v[8:9]
	v_mov_b32_e32 v2, s5
	v_add_co_u32_e32 v9, vcc, s4, v0
	s_cselect_b64 s[4:5], -1, 0
	v_cndmask_b32_e64 v0, 0, 1, s[4:5]
	v_add_u32_e32 v17, v16, v14
	v_cmp_gt_i32_e64 s[2:3], s29, v8
	v_addc_co_u32_e32 v18, vcc, v2, v1, vcc
	v_cmp_ne_u32_e64 s[4:5], 1, v0
	v_add_u32_e32 v19, 0x800, v16
	v_add_u32_e32 v20, 0x1000, v16
	;; [unrolled: 1-line block ×3, first 2 shown]
	s_branch .LBB13_4
.LBB13_3:                               ;   in Loop: Header=BB13_4 Depth=1
	s_add_i32 s7, s7, s22
	s_cmp_gt_i32 s7, s31
	s_cbranch_scc1 .LBB13_13
.LBB13_4:                               ; =>This Loop Header: Depth=1
                                        ;     Child Loop BB13_7 Depth 2
	s_and_b64 vcc, exec, s[4:5]
	s_cbranch_vccnz .LBB13_3
; %bb.5:                                ;   in Loop: Header=BB13_4 Depth=1
	v_lshl_add_u32 v2, s7, 5, v13
	v_ashrrev_i32_e32 v3, 31, v2
	v_mul_lo_u32 v4, v3, s26
	v_mul_lo_u32 v5, v2, s27
	v_mad_u64_u32 v[0:1], s[8:9], v2, s26, 0
	v_add3_u32 v1, v1, v5, v4
	v_lshlrev_b64 v[0:1], 3, v[0:1]
	v_mov_b32_e32 v4, s21
	v_add_co_u32_e64 v22, s[8:9], s20, v0
	v_addc_co_u32_e64 v23, s[8:9], v4, v1, s[8:9]
	v_mul_lo_u32 v3, v3, s42
	v_mul_lo_u32 v4, v2, s43
	v_mad_u64_u32 v[0:1], s[8:9], v2, s42, 0
	v_add3_u32 v1, v1, v4, v3
	v_lshlrev_b64 v[0:1], 3, v[0:1]
	v_cmp_gt_i32_e32 vcc, s30, v2
	v_add_co_u32_e64 v10, s[8:9], v9, v0
	s_and_b64 s[12:13], s[2:3], vcc
	v_addc_co_u32_e64 v11, s[8:9], v18, v1, s[8:9]
	s_mov_b32 s6, 0
	s_branch .LBB13_7
.LBB13_6:                               ;   in Loop: Header=BB13_7 Depth=2
	s_or_b64 exec, exec, s[8:9]
	s_add_i32 s6, s6, 32
	s_cmp_ge_i32 s6, s29
	s_barrier
	s_cbranch_scc1 .LBB13_3
.LBB13_7:                               ;   Parent Loop BB13_4 Depth=1
                                        ; =>  This Inner Loop Header: Depth=2
	v_add_u32_e32 v0, s6, v13
	v_cndmask_b32_e64 v1, v0, v8, s[0:1]
	v_cndmask_b32_e64 v2, v8, v0, s[0:1]
	v_cmp_gt_i32_e64 s[8:9], v1, v2
	v_cndmask_b32_e64 v2, v8, v0, s[8:9]
	v_cndmask_b32_e64 v1, v0, v8, s[8:9]
	v_max_i32_e32 v0, v2, v1
	v_cmp_gt_i32_e64 s[8:9], s29, v0
	v_mov_b32_e32 v0, 0
	v_mov_b32_e32 v4, 0
	;; [unrolled: 1-line block ×3, first 2 shown]
	s_and_saveexec_b64 s[14:15], s[8:9]
	s_cbranch_execz .LBB13_9
; %bb.8:                                ;   in Loop: Header=BB13_7 Depth=2
	v_ashrrev_i32_e32 v3, 31, v1
	v_mul_lo_u32 v6, v1, s19
	v_mul_lo_u32 v3, v3, s18
	v_mad_u64_u32 v[4:5], s[8:9], v1, s18, 0
	v_add3_u32 v5, v5, v6, v3
	v_lshlrev_b64 v[4:5], 3, v[4:5]
	v_ashrrev_i32_e32 v3, 31, v2
	v_mov_b32_e32 v1, s17
	v_add_co_u32_e64 v4, s[8:9], s16, v4
	v_addc_co_u32_e64 v1, s[8:9], v1, v5, s[8:9]
	v_lshlrev_b64 v[2:3], 3, v[2:3]
	v_add_co_u32_e64 v2, s[8:9], v4, v2
	v_addc_co_u32_e64 v3, s[8:9], v1, v3, s[8:9]
	global_load_dwordx2 v[4:5], v[2:3], off
.LBB13_9:                               ;   in Loop: Header=BB13_7 Depth=2
	s_or_b64 exec, exec, s[14:15]
	v_add_u32_e32 v2, s6, v12
	v_cmp_gt_i32_e64 s[8:9], s29, v2
	s_and_b64 s[8:9], s[8:9], vcc
	v_mov_b32_e32 v1, 0
	s_waitcnt vmcnt(0)
	ds_write_b64 v15, v[4:5]
	s_and_saveexec_b64 s[14:15], s[8:9]
	s_cbranch_execz .LBB13_11
; %bb.10:                               ;   in Loop: Header=BB13_7 Depth=2
	v_ashrrev_i32_e32 v3, 31, v2
	v_lshlrev_b64 v[0:1], 3, v[2:3]
	v_add_co_u32_e64 v0, s[8:9], v22, v0
	v_addc_co_u32_e64 v1, s[8:9], v23, v1, s[8:9]
	global_load_dwordx2 v[0:1], v[0:1], off
.LBB13_11:                              ;   in Loop: Header=BB13_7 Depth=2
	s_or_b64 exec, exec, s[14:15]
	s_waitcnt vmcnt(0)
	ds_write_b64 v17, v[0:1]
	s_waitcnt lgkmcnt(0)
	s_barrier
	s_and_saveexec_b64 s[8:9], s[12:13]
	s_cbranch_execz .LBB13_6
; %bb.12:                               ;   in Loop: Header=BB13_7 Depth=2
	ds_read2_b64 v[0:3], v16 offset1:32
	ds_read_b128 v[4:7], v14
	ds_read_b128 v[24:27], v14 offset:16
	ds_read_b128 v[28:31], v14 offset:32
	;; [unrolled: 1-line block ×3, first 2 shown]
	s_waitcnt lgkmcnt(3)
	v_mul_f32_e32 v36, v1, v5
	v_fma_f32 v36, v0, v4, -v36
	v_mul_f32_e32 v0, v0, v5
	v_fmac_f32_e32 v0, v1, v4
	v_add_f32_e32 v1, 0, v36
	ds_read2_b64 v[36:39], v16 offset0:64 offset1:96
	v_mul_f32_e32 v4, v3, v7
	v_fma_f32 v4, v2, v6, -v4
	v_mul_f32_e32 v2, v2, v7
	v_add_f32_e32 v0, 0, v0
	v_fmac_f32_e32 v2, v3, v6
	s_waitcnt lgkmcnt(0)
	v_mul_f32_e32 v3, v36, v25
	v_add_f32_e32 v0, v0, v2
	v_mul_f32_e32 v2, v37, v25
	v_fmac_f32_e32 v3, v37, v24
	v_add_f32_e32 v1, v1, v4
	v_fma_f32 v2, v36, v24, -v2
	v_add_f32_e32 v5, v0, v3
	v_mul_f32_e32 v0, v39, v27
	v_add_f32_e32 v4, v1, v2
	v_fma_f32 v6, v38, v26, -v0
	ds_read2_b64 v[0:3], v16 offset0:128 offset1:160
	v_mul_f32_e32 v7, v38, v27
	v_add_f32_e32 v4, v4, v6
	v_fmac_f32_e32 v7, v39, v26
	v_add_f32_e32 v5, v5, v7
	s_waitcnt lgkmcnt(0)
	v_mul_f32_e32 v6, v1, v29
	v_fma_f32 v6, v0, v28, -v6
	v_mul_f32_e32 v0, v0, v29
	v_fmac_f32_e32 v0, v1, v28
	v_add_f32_e32 v1, v4, v6
	v_mul_f32_e32 v4, v3, v31
	v_add_f32_e32 v0, v5, v0
	v_fma_f32 v24, v2, v30, -v4
	ds_read2_b64 v[4:7], v16 offset0:192 offset1:224
	v_mul_f32_e32 v2, v2, v31
	v_fmac_f32_e32 v2, v3, v30
	v_add_f32_e32 v0, v0, v2
	v_add_f32_e32 v1, v1, v24
	s_waitcnt lgkmcnt(0)
	v_mul_f32_e32 v3, v4, v33
	v_mul_f32_e32 v2, v5, v33
	v_fmac_f32_e32 v3, v5, v32
	v_fma_f32 v2, v4, v32, -v2
	v_add_f32_e32 v5, v0, v3
	v_mul_f32_e32 v0, v7, v35
	v_add_f32_e32 v4, v1, v2
	v_fma_f32 v28, v6, v34, -v0
	ds_read2_b64 v[0:3], v19 offset1:32
	ds_read_b128 v[24:27], v14 offset:64
	v_mul_f32_e32 v6, v6, v35
	v_fmac_f32_e32 v6, v7, v34
	v_add_f32_e32 v28, v4, v28
	v_add_f32_e32 v29, v5, v6
	s_waitcnt lgkmcnt(0)
	v_mul_f32_e32 v30, v1, v25
	v_fma_f32 v30, v0, v24, -v30
	v_mul_f32_e32 v0, v0, v25
	v_fmac_f32_e32 v0, v1, v24
	ds_read_b128 v[4:7], v14 offset:80
	v_add_f32_e32 v1, v28, v30
	v_add_f32_e32 v0, v29, v0
	ds_read2_b64 v[28:31], v19 offset0:64 offset1:96
	v_mul_f32_e32 v24, v3, v27
	v_fma_f32 v24, v2, v26, -v24
	v_mul_f32_e32 v2, v2, v27
	v_fmac_f32_e32 v2, v3, v26
	s_waitcnt lgkmcnt(0)
	v_mul_f32_e32 v3, v28, v5
	v_add_f32_e32 v0, v0, v2
	v_mul_f32_e32 v2, v29, v5
	v_fmac_f32_e32 v3, v29, v4
	v_add_f32_e32 v1, v1, v24
	v_fma_f32 v2, v28, v4, -v2
	v_add_f32_e32 v5, v0, v3
	v_mul_f32_e32 v0, v31, v7
	v_add_f32_e32 v4, v1, v2
	v_fma_f32 v28, v30, v6, -v0
	ds_read2_b64 v[0:3], v19 offset0:128 offset1:160
	ds_read_b128 v[24:27], v14 offset:96
	v_mul_f32_e32 v7, v30, v7
	v_fmac_f32_e32 v7, v31, v6
	v_add_f32_e32 v28, v4, v28
	v_add_f32_e32 v29, v5, v7
	s_waitcnt lgkmcnt(0)
	v_mul_f32_e32 v30, v1, v25
	v_fma_f32 v30, v0, v24, -v30
	v_mul_f32_e32 v0, v0, v25
	v_fmac_f32_e32 v0, v1, v24
	ds_read_b128 v[4:7], v14 offset:112
	v_add_f32_e32 v1, v28, v30
	v_add_f32_e32 v0, v29, v0
	ds_read2_b64 v[28:31], v19 offset0:192 offset1:224
	v_mul_f32_e32 v24, v3, v27
	v_fma_f32 v24, v2, v26, -v24
	v_mul_f32_e32 v2, v2, v27
	v_fmac_f32_e32 v2, v3, v26
	s_waitcnt lgkmcnt(0)
	v_mul_f32_e32 v3, v28, v5
	v_add_f32_e32 v0, v0, v2
	v_mul_f32_e32 v2, v29, v5
	v_fmac_f32_e32 v3, v29, v4
	v_add_f32_e32 v1, v1, v24
	v_fma_f32 v2, v28, v4, -v2
	v_add_f32_e32 v5, v0, v3
	v_mul_f32_e32 v0, v31, v7
	v_add_f32_e32 v4, v1, v2
	v_fma_f32 v28, v30, v6, -v0
	ds_read2_b64 v[0:3], v20 offset1:32
	ds_read_b128 v[24:27], v14 offset:128
	v_mul_f32_e32 v7, v30, v7
	v_fmac_f32_e32 v7, v31, v6
	v_add_f32_e32 v4, v4, v28
	ds_read_b128 v[28:31], v14 offset:144
	ds_read2_b64 v[32:35], v20 offset0:64 offset1:96
	s_waitcnt lgkmcnt(2)
	v_mul_f32_e32 v6, v1, v25
	v_fma_f32 v6, v0, v24, -v6
	v_mul_f32_e32 v0, v0, v25
	v_fmac_f32_e32 v0, v1, v24
	v_add_f32_e32 v1, v4, v6
	v_mul_f32_e32 v4, v3, v27
	v_add_f32_e32 v5, v5, v7
	v_fma_f32 v4, v2, v26, -v4
	v_mul_f32_e32 v2, v2, v27
	v_add_f32_e32 v0, v5, v0
	v_fmac_f32_e32 v2, v3, v26
	s_waitcnt lgkmcnt(0)
	v_mul_f32_e32 v3, v32, v29
	v_add_f32_e32 v0, v0, v2
	v_mul_f32_e32 v2, v33, v29
	v_fmac_f32_e32 v3, v33, v28
	v_add_f32_e32 v1, v1, v4
	v_fma_f32 v2, v32, v28, -v2
	v_add_f32_e32 v25, v0, v3
	v_mul_f32_e32 v0, v35, v31
	v_add_f32_e32 v24, v1, v2
	v_fma_f32 v26, v34, v30, -v0
	ds_read2_b64 v[0:3], v20 offset0:128 offset1:160
	ds_read_b128 v[4:7], v14 offset:160
	global_load_dwordx2 v[32:33], v[10:11], off
	v_mul_f32_e32 v27, v34, v31
	v_fmac_f32_e32 v27, v35, v30
	v_add_f32_e32 v28, v24, v26
	s_waitcnt lgkmcnt(0)
	v_mul_f32_e32 v30, v1, v5
	v_fma_f32 v30, v0, v4, -v30
	v_mul_f32_e32 v0, v0, v5
	v_add_f32_e32 v29, v25, v27
	v_fmac_f32_e32 v0, v1, v4
	ds_read_b128 v[24:27], v14 offset:176
	v_add_f32_e32 v1, v28, v30
	v_add_f32_e32 v0, v29, v0
	ds_read2_b64 v[28:31], v20 offset0:192 offset1:224
	v_mul_f32_e32 v4, v3, v7
	v_fma_f32 v4, v2, v6, -v4
	v_mul_f32_e32 v2, v2, v7
	v_fmac_f32_e32 v2, v3, v6
	s_waitcnt lgkmcnt(0)
	v_mul_f32_e32 v3, v28, v25
	v_add_f32_e32 v0, v0, v2
	v_mul_f32_e32 v2, v29, v25
	v_fmac_f32_e32 v3, v29, v24
	v_add_f32_e32 v1, v1, v4
	v_fma_f32 v2, v28, v24, -v2
	v_add_f32_e32 v25, v0, v3
	v_mul_f32_e32 v0, v31, v27
	v_add_f32_e32 v24, v1, v2
	v_fma_f32 v28, v30, v26, -v0
	ds_read2_b64 v[0:3], v21 offset1:32
	ds_read_b128 v[4:7], v14 offset:192
	v_mul_f32_e32 v27, v30, v27
	v_fmac_f32_e32 v27, v31, v26
	v_add_f32_e32 v28, v24, v28
	v_add_f32_e32 v29, v25, v27
	s_waitcnt lgkmcnt(0)
	v_mul_f32_e32 v30, v1, v5
	v_fma_f32 v30, v0, v4, -v30
	v_mul_f32_e32 v0, v0, v5
	v_fmac_f32_e32 v0, v1, v4
	ds_read_b128 v[24:27], v14 offset:208
	v_add_f32_e32 v1, v28, v30
	v_add_f32_e32 v0, v29, v0
	ds_read2_b64 v[28:31], v21 offset0:64 offset1:96
	v_mul_f32_e32 v4, v3, v7
	v_fma_f32 v4, v2, v6, -v4
	v_mul_f32_e32 v2, v2, v7
	v_fmac_f32_e32 v2, v3, v6
	s_waitcnt lgkmcnt(0)
	v_mul_f32_e32 v3, v28, v25
	v_add_f32_e32 v0, v0, v2
	v_mul_f32_e32 v2, v29, v25
	v_fmac_f32_e32 v3, v29, v24
	v_add_f32_e32 v1, v1, v4
	v_fma_f32 v2, v28, v24, -v2
	v_add_f32_e32 v25, v0, v3
	v_mul_f32_e32 v0, v31, v27
	v_add_f32_e32 v24, v1, v2
	v_fma_f32 v28, v30, v26, -v0
	ds_read2_b64 v[0:3], v21 offset0:128 offset1:160
	ds_read_b128 v[4:7], v14 offset:224
	v_mul_f32_e32 v27, v30, v27
	v_fmac_f32_e32 v27, v31, v26
	v_add_f32_e32 v28, v24, v28
	v_add_f32_e32 v29, v25, v27
	s_waitcnt lgkmcnt(0)
	v_mul_f32_e32 v30, v1, v5
	v_fma_f32 v30, v0, v4, -v30
	v_mul_f32_e32 v0, v0, v5
	v_fmac_f32_e32 v0, v1, v4
	ds_read_b128 v[24:27], v14 offset:240
	v_add_f32_e32 v1, v28, v30
	v_add_f32_e32 v0, v29, v0
	ds_read2_b64 v[28:31], v21 offset0:192 offset1:224
	v_mul_f32_e32 v4, v3, v7
	v_fma_f32 v4, v2, v6, -v4
	v_mul_f32_e32 v2, v2, v7
	v_fmac_f32_e32 v2, v3, v6
	v_add_f32_e32 v0, v0, v2
	s_waitcnt lgkmcnt(0)
	v_mul_f32_e32 v2, v29, v25
	v_mul_f32_e32 v3, v28, v25
	v_add_f32_e32 v1, v1, v4
	v_fma_f32 v2, v28, v24, -v2
	v_fmac_f32_e32 v3, v29, v24
	v_add_f32_e32 v1, v1, v2
	v_add_f32_e32 v2, v0, v3
	v_mul_f32_e32 v3, v30, v27
	v_mul_f32_e32 v0, v31, v27
	v_fmac_f32_e32 v3, v31, v26
	v_fma_f32 v0, v30, v26, -v0
	v_add_f32_e32 v2, v2, v3
	v_add_f32_e32 v0, v1, v0
	v_pk_mul_f32 v[2:3], s[10:11], v[2:3] op_sel_hi:[1,0]
	v_pk_fma_f32 v[4:5], s[10:11], v[0:1], v[2:3] op_sel:[0,0,1] op_sel_hi:[1,1,0] neg_lo:[0,0,1] neg_hi:[0,0,1]
	v_pk_fma_f32 v[0:1], s[10:11], v[0:1], v[2:3] op_sel:[0,0,1] op_sel_hi:[1,0,0]
	v_mov_b32_e32 v5, v1
	s_waitcnt vmcnt(0)
	v_pk_add_f32 v[0:1], v[32:33], v[4:5]
	global_store_dwordx2 v[10:11], v[0:1], off
	s_branch .LBB13_6
.LBB13_13:
	s_endpgm
	.section	.rodata,"a",@progbits
	.p2align	6, 0x0
	.amdhsa_kernel _ZL24rocblas_symm_hemm_kernelILb0ELb0ELi32EPK19rocblas_complex_numIfES3_PS1_EvbiiT2_T3_lllS6_lllT4_llli
		.amdhsa_group_segment_fixed_size 16384
		.amdhsa_private_segment_fixed_size 0
		.amdhsa_kernarg_size 384
		.amdhsa_user_sgpr_count 6
		.amdhsa_user_sgpr_private_segment_buffer 1
		.amdhsa_user_sgpr_dispatch_ptr 0
		.amdhsa_user_sgpr_queue_ptr 0
		.amdhsa_user_sgpr_kernarg_segment_ptr 1
		.amdhsa_user_sgpr_dispatch_id 0
		.amdhsa_user_sgpr_flat_scratch_init 0
		.amdhsa_user_sgpr_kernarg_preload_length 0
		.amdhsa_user_sgpr_kernarg_preload_offset 0
		.amdhsa_user_sgpr_private_segment_size 0
		.amdhsa_uses_dynamic_stack 0
		.amdhsa_system_sgpr_private_segment_wavefront_offset 0
		.amdhsa_system_sgpr_workgroup_id_x 1
		.amdhsa_system_sgpr_workgroup_id_y 1
		.amdhsa_system_sgpr_workgroup_id_z 1
		.amdhsa_system_sgpr_workgroup_info 0
		.amdhsa_system_vgpr_workitem_id 1
		.amdhsa_next_free_vgpr 40
		.amdhsa_next_free_sgpr 44
		.amdhsa_accum_offset 40
		.amdhsa_reserve_vcc 1
		.amdhsa_reserve_flat_scratch 0
		.amdhsa_float_round_mode_32 0
		.amdhsa_float_round_mode_16_64 0
		.amdhsa_float_denorm_mode_32 3
		.amdhsa_float_denorm_mode_16_64 3
		.amdhsa_dx10_clamp 1
		.amdhsa_ieee_mode 1
		.amdhsa_fp16_overflow 0
		.amdhsa_tg_split 0
		.amdhsa_exception_fp_ieee_invalid_op 0
		.amdhsa_exception_fp_denorm_src 0
		.amdhsa_exception_fp_ieee_div_zero 0
		.amdhsa_exception_fp_ieee_overflow 0
		.amdhsa_exception_fp_ieee_underflow 0
		.amdhsa_exception_fp_ieee_inexact 0
		.amdhsa_exception_int_div_zero 0
	.end_amdhsa_kernel
	.section	.text._ZL24rocblas_symm_hemm_kernelILb0ELb0ELi32EPK19rocblas_complex_numIfES3_PS1_EvbiiT2_T3_lllS6_lllT4_llli,"axG",@progbits,_ZL24rocblas_symm_hemm_kernelILb0ELb0ELi32EPK19rocblas_complex_numIfES3_PS1_EvbiiT2_T3_lllS6_lllT4_llli,comdat
.Lfunc_end13:
	.size	_ZL24rocblas_symm_hemm_kernelILb0ELb0ELi32EPK19rocblas_complex_numIfES3_PS1_EvbiiT2_T3_lllS6_lllT4_llli, .Lfunc_end13-_ZL24rocblas_symm_hemm_kernelILb0ELb0ELi32EPK19rocblas_complex_numIfES3_PS1_EvbiiT2_T3_lllS6_lllT4_llli
                                        ; -- End function
	.section	.AMDGPU.csdata,"",@progbits
; Kernel info:
; codeLenInByte = 2136
; NumSgprs: 48
; NumVgprs: 40
; NumAgprs: 0
; TotalNumVgprs: 40
; ScratchSize: 0
; MemoryBound: 0
; FloatMode: 240
; IeeeMode: 1
; LDSByteSize: 16384 bytes/workgroup (compile time only)
; SGPRBlocks: 5
; VGPRBlocks: 4
; NumSGPRsForWavesPerEU: 48
; NumVGPRsForWavesPerEU: 40
; AccumOffset: 40
; Occupancy: 8
; WaveLimiterHint : 0
; COMPUTE_PGM_RSRC2:SCRATCH_EN: 0
; COMPUTE_PGM_RSRC2:USER_SGPR: 6
; COMPUTE_PGM_RSRC2:TRAP_HANDLER: 0
; COMPUTE_PGM_RSRC2:TGID_X_EN: 1
; COMPUTE_PGM_RSRC2:TGID_Y_EN: 1
; COMPUTE_PGM_RSRC2:TGID_Z_EN: 1
; COMPUTE_PGM_RSRC2:TIDIG_COMP_CNT: 1
; COMPUTE_PGM_RSRC3_GFX90A:ACCUM_OFFSET: 9
; COMPUTE_PGM_RSRC3_GFX90A:TG_SPLIT: 0
	.section	.text._ZL24rocblas_symm_hemm_kernelILb0ELb1ELi32EPK19rocblas_complex_numIfES3_PS1_EvbiiT2_T3_lllS6_lllT4_llli,"axG",@progbits,_ZL24rocblas_symm_hemm_kernelILb0ELb1ELi32EPK19rocblas_complex_numIfES3_PS1_EvbiiT2_T3_lllS6_lllT4_llli,comdat
	.globl	_ZL24rocblas_symm_hemm_kernelILb0ELb1ELi32EPK19rocblas_complex_numIfES3_PS1_EvbiiT2_T3_lllS6_lllT4_llli ; -- Begin function _ZL24rocblas_symm_hemm_kernelILb0ELb1ELi32EPK19rocblas_complex_numIfES3_PS1_EvbiiT2_T3_lllS6_lllT4_llli
	.p2align	8
	.type	_ZL24rocblas_symm_hemm_kernelILb0ELb1ELi32EPK19rocblas_complex_numIfES3_PS1_EvbiiT2_T3_lllS6_lllT4_llli,@function
_ZL24rocblas_symm_hemm_kernelILb0ELb1ELi32EPK19rocblas_complex_numIfES3_PS1_EvbiiT2_T3_lllS6_lllT4_llli: ; @_ZL24rocblas_symm_hemm_kernelILb0ELb1ELi32EPK19rocblas_complex_numIfES3_PS1_EvbiiT2_T3_lllS6_lllT4_llli
; %bb.0:
	s_load_dwordx16 s[12:27], s[4:5], 0x10
	s_waitcnt lgkmcnt(0)
	s_load_dwordx2 s[10:11], s[12:13], 0x0
	s_waitcnt lgkmcnt(0)
	v_cmp_eq_f32_e64 s[0:1], s10, 0
	v_cmp_eq_f32_e64 s[2:3], s11, 0
	s_and_b64 s[0:1], s[0:1], s[2:3]
	s_and_b64 vcc, exec, s[0:1]
	s_cbranch_vccnz .LBB14_13
; %bb.1:
	s_load_dwordx4 s[28:31], s[4:5], 0x0
	s_waitcnt lgkmcnt(0)
	s_add_i32 s0, s30, -1
	s_ashr_i32 s1, s0, 31
	s_lshr_b32 s1, s1, 27
	s_add_i32 s0, s0, s1
	s_ashr_i32 s31, s0, 5
	s_cmp_gt_i32 s7, s31
	s_cbranch_scc1 .LBB14_13
; %bb.2:
	s_mul_i32 s0, s8, s21
	s_mul_hi_u32 s1, s8, s20
	s_add_i32 s1, s1, s0
	s_mul_i32 s0, s8, s20
	s_lshl_b64 s[0:1], s[0:1], 3
	s_add_u32 s2, s14, s0
	s_addc_u32 s3, s15, s1
	s_lshl_b64 s[0:1], s[16:17], 3
	s_add_u32 s14, s2, s0
	s_addc_u32 s15, s3, s1
	s_load_dwordx2 s[2:3], s[4:5], 0x70
	s_load_dwordx8 s[36:43], s[4:5], 0x50
	s_load_dword s16, s[4:5], 0x84
	s_bitcmp1_b32 s28, 0
	s_cselect_b64 s[0:1], -1, 0
	v_and_b32_e32 v10, 0x3ff, v0
	s_waitcnt lgkmcnt(0)
	s_mul_i32 s3, s8, s3
	s_mul_hi_u32 s4, s8, s2
	s_add_i32 s3, s4, s3
	s_mul_i32 s2, s8, s2
	s_lshl_b64 s[2:3], s[2:3], 3
	s_add_u32 s4, s38, s2
	s_addc_u32 s5, s39, s3
	s_lshl_b64 s[2:3], s[40:41], 3
	s_add_u32 s4, s4, s2
	s_addc_u32 s5, s5, s3
	s_mul_i32 s2, s8, s37
	s_mul_hi_u32 s3, s8, s36
	s_add_i32 s3, s3, s2
	s_mul_i32 s2, s8, s36
	s_lshl_b64 s[2:3], s[2:3], 3
	s_add_u32 s8, s22, s2
	s_addc_u32 s9, s23, s3
	s_lshl_b64 s[2:3], s[24:25], 3
	v_lshl_add_u32 v2, s6, 5, v10
	s_add_u32 s8, s8, s2
	v_ashrrev_i32_e32 v3, 31, v2
	s_addc_u32 s9, s9, s3
	v_bfe_u32 v11, v0, 10, 10
	v_lshlrev_b64 v[0:1], 3, v[2:3]
	v_cmp_gt_i32_e64 s[2:3], s29, v2
	v_mov_b32_e32 v2, s9
	v_add_co_u32_e32 v12, vcc, s8, v0
	s_cmp_gt_i32 s30, 0
	v_addc_co_u32_e32 v13, vcc, v2, v1, vcc
	v_lshlrev_b32_e32 v2, 3, v11
	v_lshlrev_b32_e32 v14, 8, v10
	v_add_u32_e32 v15, v14, v2
	v_or_b32_e32 v16, 0x2000, v2
	v_mov_b32_e32 v2, s5
	v_add_co_u32_e32 v18, vcc, s4, v0
	s_cselect_b64 s[4:5], -1, 0
	v_cndmask_b32_e64 v0, 0, 1, s[4:5]
	v_add_u32_e32 v17, v16, v14
	v_addc_co_u32_e32 v19, vcc, v2, v1, vcc
	v_cmp_ne_u32_e64 s[4:5], 1, v0
	v_add_u32_e32 v20, 0x800, v16
	v_add_u32_e32 v21, 0x1000, v16
	;; [unrolled: 1-line block ×3, first 2 shown]
	s_branch .LBB14_4
.LBB14_3:                               ;   in Loop: Header=BB14_4 Depth=1
	s_add_i32 s7, s7, s16
	s_cmp_gt_i32 s7, s31
	s_cbranch_scc1 .LBB14_13
.LBB14_4:                               ; =>This Loop Header: Depth=1
                                        ;     Child Loop BB14_7 Depth 2
	s_and_b64 vcc, exec, s[4:5]
	s_cbranch_vccnz .LBB14_3
; %bb.5:                                ;   in Loop: Header=BB14_4 Depth=1
	v_lshl_add_u32 v23, s7, 5, v11
	v_ashrrev_i32_e32 v0, 31, v23
	v_mul_lo_u32 v2, v0, s42
	v_mul_lo_u32 v3, v23, s43
	v_mad_u64_u32 v[0:1], s[12:13], v23, s42, 0
	v_add3_u32 v1, v1, v3, v2
	v_cmp_gt_i32_e32 vcc, s30, v23
	v_lshlrev_b64 v[0:1], 3, v[0:1]
	s_and_b64 s[8:9], s[2:3], vcc
	v_add_co_u32_e32 v8, vcc, v18, v0
	v_addc_co_u32_e32 v9, vcc, v19, v1, vcc
	s_mov_b32 s6, 0
	s_branch .LBB14_7
.LBB14_6:                               ;   in Loop: Header=BB14_7 Depth=2
	s_or_b64 exec, exec, s[12:13]
	s_add_i32 s6, s6, 32
	s_cmp_ge_i32 s6, s30
	s_barrier
	s_cbranch_scc1 .LBB14_3
.LBB14_7:                               ;   Parent Loop BB14_4 Depth=1
                                        ; =>  This Inner Loop Header: Depth=2
	v_add_u32_e32 v1, s6, v11
	v_cmp_gt_i32_e32 vcc, s30, v1
	s_and_b64 s[20:21], s[2:3], vcc
	v_mov_b32_e32 v0, 0
	v_mov_b32_e32 v2, 0
	;; [unrolled: 1-line block ×3, first 2 shown]
	s_and_saveexec_b64 s[12:13], s[20:21]
	s_cbranch_execz .LBB14_9
; %bb.8:                                ;   in Loop: Header=BB14_7 Depth=2
	v_ashrrev_i32_e32 v2, 31, v1
	v_mul_lo_u32 v4, v1, s27
	v_mul_lo_u32 v5, v2, s26
	v_mad_u64_u32 v[2:3], s[20:21], v1, s26, 0
	v_add3_u32 v3, v3, v4, v5
	v_lshlrev_b64 v[2:3], 3, v[2:3]
	v_add_co_u32_e32 v2, vcc, v12, v2
	v_addc_co_u32_e32 v3, vcc, v13, v3, vcc
	global_load_dwordx2 v[2:3], v[2:3], off
.LBB14_9:                               ;   in Loop: Header=BB14_7 Depth=2
	s_or_b64 exec, exec, s[12:13]
	v_add_u32_e32 v1, s6, v10
	s_waitcnt vmcnt(0)
	ds_write_b64 v15, v[2:3]
	v_cndmask_b32_e64 v2, v23, v1, s[0:1]
	v_cndmask_b32_e64 v3, v1, v23, s[0:1]
	v_cmp_gt_i32_e32 vcc, v2, v3
	v_cndmask_b32_e32 v2, v1, v23, vcc
	v_cndmask_b32_e32 v3, v23, v1, vcc
	v_max_i32_e32 v1, v2, v3
	v_cmp_gt_i32_e32 vcc, s30, v1
	v_mov_b32_e32 v1, 0
	s_and_saveexec_b64 s[12:13], vcc
	s_cbranch_execz .LBB14_11
; %bb.10:                               ;   in Loop: Header=BB14_7 Depth=2
	v_ashrrev_i32_e32 v0, 31, v3
	v_mul_lo_u32 v4, v3, s19
	v_mul_lo_u32 v5, v0, s18
	v_mad_u64_u32 v[0:1], s[20:21], v3, s18, 0
	v_add3_u32 v1, v1, v4, v5
	v_lshlrev_b64 v[0:1], 3, v[0:1]
	v_ashrrev_i32_e32 v3, 31, v2
	v_mov_b32_e32 v4, s15
	v_add_co_u32_e32 v5, vcc, s14, v0
	v_addc_co_u32_e32 v4, vcc, v4, v1, vcc
	v_lshlrev_b64 v[0:1], 3, v[2:3]
	v_add_co_u32_e32 v0, vcc, v5, v0
	v_addc_co_u32_e32 v1, vcc, v4, v1, vcc
	global_load_dwordx2 v[0:1], v[0:1], off
.LBB14_11:                              ;   in Loop: Header=BB14_7 Depth=2
	s_or_b64 exec, exec, s[12:13]
	s_waitcnt vmcnt(0)
	ds_write_b64 v17, v[0:1]
	s_waitcnt lgkmcnt(0)
	s_barrier
	s_and_saveexec_b64 s[12:13], s[8:9]
	s_cbranch_execz .LBB14_6
; %bb.12:                               ;   in Loop: Header=BB14_7 Depth=2
	ds_read2_b64 v[0:3], v16 offset1:32
	ds_read_b128 v[4:7], v14
	ds_read_b128 v[24:27], v14 offset:16
	ds_read_b128 v[28:31], v14 offset:32
	;; [unrolled: 1-line block ×3, first 2 shown]
	s_waitcnt lgkmcnt(3)
	v_mul_f32_e32 v36, v1, v5
	v_fma_f32 v36, v0, v4, -v36
	v_mul_f32_e32 v0, v0, v5
	v_fmac_f32_e32 v0, v1, v4
	v_add_f32_e32 v1, 0, v36
	ds_read2_b64 v[36:39], v16 offset0:64 offset1:96
	v_mul_f32_e32 v4, v3, v7
	v_fma_f32 v4, v2, v6, -v4
	v_mul_f32_e32 v2, v2, v7
	v_add_f32_e32 v0, 0, v0
	v_fmac_f32_e32 v2, v3, v6
	s_waitcnt lgkmcnt(0)
	v_mul_f32_e32 v3, v36, v25
	v_add_f32_e32 v0, v0, v2
	v_mul_f32_e32 v2, v37, v25
	v_fmac_f32_e32 v3, v37, v24
	v_add_f32_e32 v1, v1, v4
	v_fma_f32 v2, v36, v24, -v2
	v_add_f32_e32 v5, v0, v3
	v_mul_f32_e32 v0, v39, v27
	v_add_f32_e32 v4, v1, v2
	v_fma_f32 v6, v38, v26, -v0
	ds_read2_b64 v[0:3], v16 offset0:128 offset1:160
	v_mul_f32_e32 v7, v38, v27
	v_add_f32_e32 v4, v4, v6
	v_fmac_f32_e32 v7, v39, v26
	v_add_f32_e32 v5, v5, v7
	s_waitcnt lgkmcnt(0)
	v_mul_f32_e32 v6, v1, v29
	v_fma_f32 v6, v0, v28, -v6
	v_mul_f32_e32 v0, v0, v29
	v_fmac_f32_e32 v0, v1, v28
	v_add_f32_e32 v1, v4, v6
	v_mul_f32_e32 v4, v3, v31
	v_add_f32_e32 v0, v5, v0
	v_fma_f32 v24, v2, v30, -v4
	ds_read2_b64 v[4:7], v16 offset0:192 offset1:224
	v_mul_f32_e32 v2, v2, v31
	v_fmac_f32_e32 v2, v3, v30
	v_add_f32_e32 v0, v0, v2
	v_add_f32_e32 v1, v1, v24
	s_waitcnt lgkmcnt(0)
	v_mul_f32_e32 v3, v4, v33
	v_mul_f32_e32 v2, v5, v33
	v_fmac_f32_e32 v3, v5, v32
	v_fma_f32 v2, v4, v32, -v2
	v_add_f32_e32 v5, v0, v3
	v_mul_f32_e32 v0, v7, v35
	v_add_f32_e32 v4, v1, v2
	v_fma_f32 v28, v6, v34, -v0
	ds_read2_b64 v[0:3], v20 offset1:32
	ds_read_b128 v[24:27], v14 offset:64
	v_mul_f32_e32 v6, v6, v35
	v_fmac_f32_e32 v6, v7, v34
	v_add_f32_e32 v28, v4, v28
	v_add_f32_e32 v29, v5, v6
	s_waitcnt lgkmcnt(0)
	v_mul_f32_e32 v30, v1, v25
	v_fma_f32 v30, v0, v24, -v30
	v_mul_f32_e32 v0, v0, v25
	v_fmac_f32_e32 v0, v1, v24
	ds_read_b128 v[4:7], v14 offset:80
	v_add_f32_e32 v1, v28, v30
	v_add_f32_e32 v0, v29, v0
	ds_read2_b64 v[28:31], v20 offset0:64 offset1:96
	v_mul_f32_e32 v24, v3, v27
	v_fma_f32 v24, v2, v26, -v24
	v_mul_f32_e32 v2, v2, v27
	v_fmac_f32_e32 v2, v3, v26
	s_waitcnt lgkmcnt(0)
	v_mul_f32_e32 v3, v28, v5
	v_add_f32_e32 v0, v0, v2
	v_mul_f32_e32 v2, v29, v5
	v_fmac_f32_e32 v3, v29, v4
	v_add_f32_e32 v1, v1, v24
	v_fma_f32 v2, v28, v4, -v2
	v_add_f32_e32 v5, v0, v3
	v_mul_f32_e32 v0, v31, v7
	v_add_f32_e32 v4, v1, v2
	v_fma_f32 v28, v30, v6, -v0
	ds_read2_b64 v[0:3], v20 offset0:128 offset1:160
	ds_read_b128 v[24:27], v14 offset:96
	v_mul_f32_e32 v7, v30, v7
	v_fmac_f32_e32 v7, v31, v6
	v_add_f32_e32 v28, v4, v28
	v_add_f32_e32 v29, v5, v7
	s_waitcnt lgkmcnt(0)
	v_mul_f32_e32 v30, v1, v25
	v_fma_f32 v30, v0, v24, -v30
	v_mul_f32_e32 v0, v0, v25
	v_fmac_f32_e32 v0, v1, v24
	ds_read_b128 v[4:7], v14 offset:112
	v_add_f32_e32 v1, v28, v30
	v_add_f32_e32 v0, v29, v0
	ds_read2_b64 v[28:31], v20 offset0:192 offset1:224
	v_mul_f32_e32 v24, v3, v27
	v_fma_f32 v24, v2, v26, -v24
	v_mul_f32_e32 v2, v2, v27
	v_fmac_f32_e32 v2, v3, v26
	s_waitcnt lgkmcnt(0)
	v_mul_f32_e32 v3, v28, v5
	v_add_f32_e32 v0, v0, v2
	v_mul_f32_e32 v2, v29, v5
	v_fmac_f32_e32 v3, v29, v4
	v_add_f32_e32 v1, v1, v24
	v_fma_f32 v2, v28, v4, -v2
	v_add_f32_e32 v5, v0, v3
	v_mul_f32_e32 v0, v31, v7
	v_add_f32_e32 v4, v1, v2
	v_fma_f32 v28, v30, v6, -v0
	ds_read2_b64 v[0:3], v21 offset1:32
	ds_read_b128 v[24:27], v14 offset:128
	v_mul_f32_e32 v7, v30, v7
	v_fmac_f32_e32 v7, v31, v6
	v_add_f32_e32 v4, v4, v28
	ds_read_b128 v[28:31], v14 offset:144
	ds_read2_b64 v[32:35], v21 offset0:64 offset1:96
	s_waitcnt lgkmcnt(2)
	v_mul_f32_e32 v6, v1, v25
	v_fma_f32 v6, v0, v24, -v6
	v_mul_f32_e32 v0, v0, v25
	v_fmac_f32_e32 v0, v1, v24
	v_add_f32_e32 v1, v4, v6
	v_mul_f32_e32 v4, v3, v27
	v_add_f32_e32 v5, v5, v7
	v_fma_f32 v4, v2, v26, -v4
	v_mul_f32_e32 v2, v2, v27
	v_add_f32_e32 v0, v5, v0
	v_fmac_f32_e32 v2, v3, v26
	s_waitcnt lgkmcnt(0)
	v_mul_f32_e32 v3, v32, v29
	v_add_f32_e32 v0, v0, v2
	v_mul_f32_e32 v2, v33, v29
	v_fmac_f32_e32 v3, v33, v28
	v_add_f32_e32 v1, v1, v4
	v_fma_f32 v2, v32, v28, -v2
	v_add_f32_e32 v25, v0, v3
	v_mul_f32_e32 v0, v35, v31
	v_add_f32_e32 v24, v1, v2
	v_fma_f32 v26, v34, v30, -v0
	ds_read2_b64 v[0:3], v21 offset0:128 offset1:160
	ds_read_b128 v[4:7], v14 offset:160
	global_load_dwordx2 v[32:33], v[8:9], off
	v_mul_f32_e32 v27, v34, v31
	v_fmac_f32_e32 v27, v35, v30
	v_add_f32_e32 v28, v24, v26
	s_waitcnt lgkmcnt(0)
	v_mul_f32_e32 v30, v1, v5
	v_fma_f32 v30, v0, v4, -v30
	v_mul_f32_e32 v0, v0, v5
	v_add_f32_e32 v29, v25, v27
	v_fmac_f32_e32 v0, v1, v4
	ds_read_b128 v[24:27], v14 offset:176
	v_add_f32_e32 v1, v28, v30
	v_add_f32_e32 v0, v29, v0
	ds_read2_b64 v[28:31], v21 offset0:192 offset1:224
	v_mul_f32_e32 v4, v3, v7
	v_fma_f32 v4, v2, v6, -v4
	v_mul_f32_e32 v2, v2, v7
	v_fmac_f32_e32 v2, v3, v6
	s_waitcnt lgkmcnt(0)
	v_mul_f32_e32 v3, v28, v25
	v_add_f32_e32 v0, v0, v2
	v_mul_f32_e32 v2, v29, v25
	v_fmac_f32_e32 v3, v29, v24
	v_add_f32_e32 v1, v1, v4
	v_fma_f32 v2, v28, v24, -v2
	v_add_f32_e32 v25, v0, v3
	v_mul_f32_e32 v0, v31, v27
	v_add_f32_e32 v24, v1, v2
	v_fma_f32 v28, v30, v26, -v0
	ds_read2_b64 v[0:3], v22 offset1:32
	ds_read_b128 v[4:7], v14 offset:192
	v_mul_f32_e32 v27, v30, v27
	v_fmac_f32_e32 v27, v31, v26
	v_add_f32_e32 v28, v24, v28
	v_add_f32_e32 v29, v25, v27
	s_waitcnt lgkmcnt(0)
	v_mul_f32_e32 v30, v1, v5
	v_fma_f32 v30, v0, v4, -v30
	v_mul_f32_e32 v0, v0, v5
	v_fmac_f32_e32 v0, v1, v4
	ds_read_b128 v[24:27], v14 offset:208
	v_add_f32_e32 v1, v28, v30
	v_add_f32_e32 v0, v29, v0
	ds_read2_b64 v[28:31], v22 offset0:64 offset1:96
	v_mul_f32_e32 v4, v3, v7
	v_fma_f32 v4, v2, v6, -v4
	v_mul_f32_e32 v2, v2, v7
	v_fmac_f32_e32 v2, v3, v6
	s_waitcnt lgkmcnt(0)
	v_mul_f32_e32 v3, v28, v25
	v_add_f32_e32 v0, v0, v2
	v_mul_f32_e32 v2, v29, v25
	v_fmac_f32_e32 v3, v29, v24
	v_add_f32_e32 v1, v1, v4
	v_fma_f32 v2, v28, v24, -v2
	v_add_f32_e32 v25, v0, v3
	v_mul_f32_e32 v0, v31, v27
	v_add_f32_e32 v24, v1, v2
	v_fma_f32 v28, v30, v26, -v0
	ds_read2_b64 v[0:3], v22 offset0:128 offset1:160
	ds_read_b128 v[4:7], v14 offset:224
	v_mul_f32_e32 v27, v30, v27
	v_fmac_f32_e32 v27, v31, v26
	v_add_f32_e32 v28, v24, v28
	v_add_f32_e32 v29, v25, v27
	s_waitcnt lgkmcnt(0)
	v_mul_f32_e32 v30, v1, v5
	v_fma_f32 v30, v0, v4, -v30
	v_mul_f32_e32 v0, v0, v5
	v_fmac_f32_e32 v0, v1, v4
	ds_read_b128 v[24:27], v14 offset:240
	v_add_f32_e32 v1, v28, v30
	v_add_f32_e32 v0, v29, v0
	ds_read2_b64 v[28:31], v22 offset0:192 offset1:224
	v_mul_f32_e32 v4, v3, v7
	v_fma_f32 v4, v2, v6, -v4
	v_mul_f32_e32 v2, v2, v7
	v_fmac_f32_e32 v2, v3, v6
	v_add_f32_e32 v0, v0, v2
	s_waitcnt lgkmcnt(0)
	v_mul_f32_e32 v2, v29, v25
	v_mul_f32_e32 v3, v28, v25
	v_add_f32_e32 v1, v1, v4
	v_fma_f32 v2, v28, v24, -v2
	v_fmac_f32_e32 v3, v29, v24
	v_add_f32_e32 v1, v1, v2
	v_add_f32_e32 v2, v0, v3
	v_mul_f32_e32 v3, v30, v27
	v_mul_f32_e32 v0, v31, v27
	v_fmac_f32_e32 v3, v31, v26
	v_fma_f32 v0, v30, v26, -v0
	v_add_f32_e32 v2, v2, v3
	v_add_f32_e32 v0, v1, v0
	v_pk_mul_f32 v[2:3], s[10:11], v[2:3] op_sel_hi:[1,0]
	v_pk_fma_f32 v[4:5], s[10:11], v[0:1], v[2:3] op_sel:[0,0,1] op_sel_hi:[1,1,0] neg_lo:[0,0,1] neg_hi:[0,0,1]
	v_pk_fma_f32 v[0:1], s[10:11], v[0:1], v[2:3] op_sel:[0,0,1] op_sel_hi:[1,0,0]
	v_mov_b32_e32 v5, v1
	s_waitcnt vmcnt(0)
	v_pk_add_f32 v[0:1], v[32:33], v[4:5]
	global_store_dwordx2 v[8:9], v[0:1], off
	s_branch .LBB14_6
.LBB14_13:
	s_endpgm
	.section	.rodata,"a",@progbits
	.p2align	6, 0x0
	.amdhsa_kernel _ZL24rocblas_symm_hemm_kernelILb0ELb1ELi32EPK19rocblas_complex_numIfES3_PS1_EvbiiT2_T3_lllS6_lllT4_llli
		.amdhsa_group_segment_fixed_size 16384
		.amdhsa_private_segment_fixed_size 0
		.amdhsa_kernarg_size 384
		.amdhsa_user_sgpr_count 6
		.amdhsa_user_sgpr_private_segment_buffer 1
		.amdhsa_user_sgpr_dispatch_ptr 0
		.amdhsa_user_sgpr_queue_ptr 0
		.amdhsa_user_sgpr_kernarg_segment_ptr 1
		.amdhsa_user_sgpr_dispatch_id 0
		.amdhsa_user_sgpr_flat_scratch_init 0
		.amdhsa_user_sgpr_kernarg_preload_length 0
		.amdhsa_user_sgpr_kernarg_preload_offset 0
		.amdhsa_user_sgpr_private_segment_size 0
		.amdhsa_uses_dynamic_stack 0
		.amdhsa_system_sgpr_private_segment_wavefront_offset 0
		.amdhsa_system_sgpr_workgroup_id_x 1
		.amdhsa_system_sgpr_workgroup_id_y 1
		.amdhsa_system_sgpr_workgroup_id_z 1
		.amdhsa_system_sgpr_workgroup_info 0
		.amdhsa_system_vgpr_workitem_id 1
		.amdhsa_next_free_vgpr 40
		.amdhsa_next_free_sgpr 44
		.amdhsa_accum_offset 40
		.amdhsa_reserve_vcc 1
		.amdhsa_reserve_flat_scratch 0
		.amdhsa_float_round_mode_32 0
		.amdhsa_float_round_mode_16_64 0
		.amdhsa_float_denorm_mode_32 3
		.amdhsa_float_denorm_mode_16_64 3
		.amdhsa_dx10_clamp 1
		.amdhsa_ieee_mode 1
		.amdhsa_fp16_overflow 0
		.amdhsa_tg_split 0
		.amdhsa_exception_fp_ieee_invalid_op 0
		.amdhsa_exception_fp_denorm_src 0
		.amdhsa_exception_fp_ieee_div_zero 0
		.amdhsa_exception_fp_ieee_overflow 0
		.amdhsa_exception_fp_ieee_underflow 0
		.amdhsa_exception_fp_ieee_inexact 0
		.amdhsa_exception_int_div_zero 0
	.end_amdhsa_kernel
	.section	.text._ZL24rocblas_symm_hemm_kernelILb0ELb1ELi32EPK19rocblas_complex_numIfES3_PS1_EvbiiT2_T3_lllS6_lllT4_llli,"axG",@progbits,_ZL24rocblas_symm_hemm_kernelILb0ELb1ELi32EPK19rocblas_complex_numIfES3_PS1_EvbiiT2_T3_lllS6_lllT4_llli,comdat
.Lfunc_end14:
	.size	_ZL24rocblas_symm_hemm_kernelILb0ELb1ELi32EPK19rocblas_complex_numIfES3_PS1_EvbiiT2_T3_lllS6_lllT4_llli, .Lfunc_end14-_ZL24rocblas_symm_hemm_kernelILb0ELb1ELi32EPK19rocblas_complex_numIfES3_PS1_EvbiiT2_T3_lllS6_lllT4_llli
                                        ; -- End function
	.section	.AMDGPU.csdata,"",@progbits
; Kernel info:
; codeLenInByte = 2064
; NumSgprs: 48
; NumVgprs: 40
; NumAgprs: 0
; TotalNumVgprs: 40
; ScratchSize: 0
; MemoryBound: 0
; FloatMode: 240
; IeeeMode: 1
; LDSByteSize: 16384 bytes/workgroup (compile time only)
; SGPRBlocks: 5
; VGPRBlocks: 4
; NumSGPRsForWavesPerEU: 48
; NumVGPRsForWavesPerEU: 40
; AccumOffset: 40
; Occupancy: 8
; WaveLimiterHint : 0
; COMPUTE_PGM_RSRC2:SCRATCH_EN: 0
; COMPUTE_PGM_RSRC2:USER_SGPR: 6
; COMPUTE_PGM_RSRC2:TRAP_HANDLER: 0
; COMPUTE_PGM_RSRC2:TGID_X_EN: 1
; COMPUTE_PGM_RSRC2:TGID_Y_EN: 1
; COMPUTE_PGM_RSRC2:TGID_Z_EN: 1
; COMPUTE_PGM_RSRC2:TIDIG_COMP_CNT: 1
; COMPUTE_PGM_RSRC3_GFX90A:ACCUM_OFFSET: 9
; COMPUTE_PGM_RSRC3_GFX90A:TG_SPLIT: 0
	.section	.text._ZL25rocblas_symm_scale_kernelILi128ELi8E19rocblas_complex_numIfEPS1_EviiT1_T2_llli,"axG",@progbits,_ZL25rocblas_symm_scale_kernelILi128ELi8E19rocblas_complex_numIfEPS1_EviiT1_T2_llli,comdat
	.globl	_ZL25rocblas_symm_scale_kernelILi128ELi8E19rocblas_complex_numIfEPS1_EviiT1_T2_llli ; -- Begin function _ZL25rocblas_symm_scale_kernelILi128ELi8E19rocblas_complex_numIfEPS1_EviiT1_T2_llli
	.p2align	8
	.type	_ZL25rocblas_symm_scale_kernelILi128ELi8E19rocblas_complex_numIfEPS1_EviiT1_T2_llli,@function
_ZL25rocblas_symm_scale_kernelILi128ELi8E19rocblas_complex_numIfEPS1_EviiT1_T2_llli: ; @_ZL25rocblas_symm_scale_kernelILi128ELi8E19rocblas_complex_numIfEPS1_EviiT1_T2_llli
; %bb.0:
	s_load_dwordx4 s[0:3], s[4:5], 0x0
	s_waitcnt lgkmcnt(0)
	v_cmp_eq_f32_e64 s[10:11], s2, 1.0
	v_cmp_eq_f32_e64 s[12:13], s3, 0
	s_and_b64 s[10:11], s[10:11], s[12:13]
	s_and_b64 vcc, exec, s[10:11]
	s_cbranch_vccnz .LBB15_6
; %bb.1:
	v_and_b32_e32 v1, 0x3ff, v0
	v_bfe_u32 v0, v0, 10, 10
	v_lshl_add_u32 v2, s6, 7, v1
	v_lshl_add_u32 v0, s7, 3, v0
	v_mov_b32_e32 v1, 0
	s_ashr_i32 s7, s1, 31
	s_mov_b32 s6, s1
	v_cmp_gt_u32_e32 vcc, s0, v2
	v_cmp_gt_i64_e64 s[0:1], s[6:7], v[0:1]
	s_and_b64 s[0:1], vcc, s[0:1]
	s_and_saveexec_b64 s[10:11], s[0:1]
	s_cbranch_execz .LBB15_6
; %bb.2:
	s_load_dwordx8 s[12:19], s[4:5], 0x10
	s_or_b32 s0, s2, s3
	s_mov_b32 s10, s3
	s_bitset0_b32 s0, 31
	s_load_dword s3, s[4:5], 0x3c
	s_cmp_lg_u32 s0, 0
	s_waitcnt lgkmcnt(0)
	s_mul_i32 s4, s19, s8
	s_mul_hi_u32 s5, s18, s8
	s_cselect_b64 s[0:1], -1, 0
	s_add_i32 s5, s5, s4
	s_mul_i32 s4, s18, s8
	v_mad_u64_u32 v[4:5], s[8:9], s16, v0, 0
	v_mov_b32_e32 v6, v5
	v_mad_u64_u32 v[6:7], s[8:9], s17, v0, v[6:7]
	s_lshl_b32 s3, s3, 3
	s_lshl_b64 s[4:5], s[4:5], 3
	s_lshl_b64 s[8:9], s[14:15], 3
	v_mov_b32_e32 v5, v6
	s_add_u32 s4, s8, s4
	v_lshlrev_b64 v[4:5], 3, v[4:5]
	s_addc_u32 s5, s9, s5
	v_mov_b32_e32 v3, v1
	v_mov_b32_e32 v6, s5
	v_add_co_u32_e32 v4, vcc, s4, v4
	v_addc_co_u32_e32 v5, vcc, v6, v5, vcc
	v_lshlrev_b64 v[2:3], 3, v[2:3]
	v_add_co_u32_e32 v2, vcc, v4, v2
	v_addc_co_u32_e32 v3, vcc, v5, v3, vcc
	v_mov_b32_e32 v4, s13
	v_add_co_u32_e32 v2, vcc, s12, v2
	s_mul_i32 s4, s17, s3
	s_mul_hi_u32 s5, s16, s3
	v_addc_co_u32_e32 v3, vcc, v3, v4, vcc
	s_add_i32 s5, s5, s4
	s_mul_i32 s4, s16, s3
	s_mov_b32 s20, 0
	v_add_co_u32_e32 v2, vcc, 4, v2
	s_lshl_b64 s[4:5], s[4:5], 3
	v_cndmask_b32_e64 v4, 0, 1, s[0:1]
	s_mov_b32 s11, s2
	v_addc_co_u32_e32 v3, vcc, 0, v3, vcc
	s_mov_b64 s[8:9], 0
	v_cmp_ne_u32_e64 s[0:1], 1, v4
	v_mov_b32_e32 v6, s20
	v_mov_b32_e32 v7, s5
	s_branch .LBB15_4
.LBB15_3:                               ;   in Loop: Header=BB15_4 Depth=1
	v_add_co_u32_e32 v0, vcc, s3, v0
	v_addc_co_u32_e32 v1, vcc, v1, v6, vcc
	v_cmp_le_i64_e32 vcc, s[6:7], v[0:1]
	global_store_dwordx2 v[2:3], v[4:5], off offset:-4
	s_or_b64 s[8:9], vcc, s[8:9]
	v_add_co_u32_e32 v2, vcc, s4, v2
	v_addc_co_u32_e32 v3, vcc, v3, v7, vcc
	s_andn2_b64 exec, exec, s[8:9]
	s_cbranch_execz .LBB15_6
.LBB15_4:                               ; =>This Inner Loop Header: Depth=1
	s_and_b64 vcc, exec, s[0:1]
	v_mov_b32_e32 v5, 0
	v_mov_b32_e32 v4, 0
	s_cbranch_vccnz .LBB15_3
; %bb.5:                                ;   in Loop: Header=BB15_4 Depth=1
	global_load_dwordx2 v[4:5], v[2:3], off offset:-4
	s_waitcnt vmcnt(0)
	v_mul_f32_e32 v10, s2, v4
	v_pk_mul_f32 v[8:9], v[4:5], s[10:11]
	v_fma_f32 v4, -v5, s10, v10
	v_add_f32_e32 v5, v8, v9
	s_branch .LBB15_3
.LBB15_6:
	s_endpgm
	.section	.rodata,"a",@progbits
	.p2align	6, 0x0
	.amdhsa_kernel _ZL25rocblas_symm_scale_kernelILi128ELi8E19rocblas_complex_numIfEPS1_EviiT1_T2_llli
		.amdhsa_group_segment_fixed_size 0
		.amdhsa_private_segment_fixed_size 0
		.amdhsa_kernarg_size 312
		.amdhsa_user_sgpr_count 6
		.amdhsa_user_sgpr_private_segment_buffer 1
		.amdhsa_user_sgpr_dispatch_ptr 0
		.amdhsa_user_sgpr_queue_ptr 0
		.amdhsa_user_sgpr_kernarg_segment_ptr 1
		.amdhsa_user_sgpr_dispatch_id 0
		.amdhsa_user_sgpr_flat_scratch_init 0
		.amdhsa_user_sgpr_kernarg_preload_length 0
		.amdhsa_user_sgpr_kernarg_preload_offset 0
		.amdhsa_user_sgpr_private_segment_size 0
		.amdhsa_uses_dynamic_stack 0
		.amdhsa_system_sgpr_private_segment_wavefront_offset 0
		.amdhsa_system_sgpr_workgroup_id_x 1
		.amdhsa_system_sgpr_workgroup_id_y 1
		.amdhsa_system_sgpr_workgroup_id_z 1
		.amdhsa_system_sgpr_workgroup_info 0
		.amdhsa_system_vgpr_workitem_id 1
		.amdhsa_next_free_vgpr 11
		.amdhsa_next_free_sgpr 21
		.amdhsa_accum_offset 12
		.amdhsa_reserve_vcc 1
		.amdhsa_reserve_flat_scratch 0
		.amdhsa_float_round_mode_32 0
		.amdhsa_float_round_mode_16_64 0
		.amdhsa_float_denorm_mode_32 3
		.amdhsa_float_denorm_mode_16_64 3
		.amdhsa_dx10_clamp 1
		.amdhsa_ieee_mode 1
		.amdhsa_fp16_overflow 0
		.amdhsa_tg_split 0
		.amdhsa_exception_fp_ieee_invalid_op 0
		.amdhsa_exception_fp_denorm_src 0
		.amdhsa_exception_fp_ieee_div_zero 0
		.amdhsa_exception_fp_ieee_overflow 0
		.amdhsa_exception_fp_ieee_underflow 0
		.amdhsa_exception_fp_ieee_inexact 0
		.amdhsa_exception_int_div_zero 0
	.end_amdhsa_kernel
	.section	.text._ZL25rocblas_symm_scale_kernelILi128ELi8E19rocblas_complex_numIfEPS1_EviiT1_T2_llli,"axG",@progbits,_ZL25rocblas_symm_scale_kernelILi128ELi8E19rocblas_complex_numIfEPS1_EviiT1_T2_llli,comdat
.Lfunc_end15:
	.size	_ZL25rocblas_symm_scale_kernelILi128ELi8E19rocblas_complex_numIfEPS1_EviiT1_T2_llli, .Lfunc_end15-_ZL25rocblas_symm_scale_kernelILi128ELi8E19rocblas_complex_numIfEPS1_EviiT1_T2_llli
                                        ; -- End function
	.section	.AMDGPU.csdata,"",@progbits
; Kernel info:
; codeLenInByte = 428
; NumSgprs: 25
; NumVgprs: 11
; NumAgprs: 0
; TotalNumVgprs: 11
; ScratchSize: 0
; MemoryBound: 0
; FloatMode: 240
; IeeeMode: 1
; LDSByteSize: 0 bytes/workgroup (compile time only)
; SGPRBlocks: 3
; VGPRBlocks: 1
; NumSGPRsForWavesPerEU: 25
; NumVGPRsForWavesPerEU: 11
; AccumOffset: 12
; Occupancy: 8
; WaveLimiterHint : 0
; COMPUTE_PGM_RSRC2:SCRATCH_EN: 0
; COMPUTE_PGM_RSRC2:USER_SGPR: 6
; COMPUTE_PGM_RSRC2:TRAP_HANDLER: 0
; COMPUTE_PGM_RSRC2:TGID_X_EN: 1
; COMPUTE_PGM_RSRC2:TGID_Y_EN: 1
; COMPUTE_PGM_RSRC2:TGID_Z_EN: 1
; COMPUTE_PGM_RSRC2:TIDIG_COMP_CNT: 1
; COMPUTE_PGM_RSRC3_GFX90A:ACCUM_OFFSET: 2
; COMPUTE_PGM_RSRC3_GFX90A:TG_SPLIT: 0
	.section	.text._ZL24rocblas_symm_hemm_kernelILb0ELb0ELi32E19rocblas_complex_numIfEPKS1_PS1_EvbiiT2_T3_lllS6_lllT4_llli,"axG",@progbits,_ZL24rocblas_symm_hemm_kernelILb0ELb0ELi32E19rocblas_complex_numIfEPKS1_PS1_EvbiiT2_T3_lllS6_lllT4_llli,comdat
	.globl	_ZL24rocblas_symm_hemm_kernelILb0ELb0ELi32E19rocblas_complex_numIfEPKS1_PS1_EvbiiT2_T3_lllS6_lllT4_llli ; -- Begin function _ZL24rocblas_symm_hemm_kernelILb0ELb0ELi32E19rocblas_complex_numIfEPKS1_PS1_EvbiiT2_T3_lllS6_lllT4_llli
	.p2align	8
	.type	_ZL24rocblas_symm_hemm_kernelILb0ELb0ELi32E19rocblas_complex_numIfEPKS1_PS1_EvbiiT2_T3_lllS6_lllT4_llli,@function
_ZL24rocblas_symm_hemm_kernelILb0ELb0ELi32E19rocblas_complex_numIfEPKS1_PS1_EvbiiT2_T3_lllS6_lllT4_llli: ; @_ZL24rocblas_symm_hemm_kernelILb0ELb0ELi32E19rocblas_complex_numIfEPKS1_PS1_EvbiiT2_T3_lllS6_lllT4_llli
; %bb.0:
	s_load_dwordx4 s[28:31], s[4:5], 0x0
	s_load_dword s11, s[4:5], 0x10
	s_waitcnt lgkmcnt(0)
	v_cmp_eq_f32_e64 s[0:1], s31, 0
	v_cmp_eq_f32_e64 s[2:3], s11, 0
	s_and_b64 s[0:1], s[0:1], s[2:3]
	s_and_b64 vcc, exec, s[0:1]
	s_cbranch_vccnz .LBB16_13
; %bb.1:
	s_add_i32 s0, s30, -1
	s_ashr_i32 s1, s0, 31
	s_lshr_b32 s1, s1, 27
	s_add_i32 s0, s0, s1
	s_ashr_i32 s33, s0, 5
	s_cmp_gt_i32 s7, s33
	s_cbranch_scc1 .LBB16_13
; %bb.2:
	s_load_dwordx16 s[12:27], s[4:5], 0x18
	s_load_dwordx8 s[36:43], s[4:5], 0x58
	v_and_b32_e32 v12, 0x3ff, v0
	v_lshl_add_u32 v8, s6, 5, v12
	v_bfe_u32 v13, v0, 10, 10
	s_waitcnt lgkmcnt(0)
	s_mul_i32 s1, s8, s19
	s_mul_hi_u32 s2, s8, s18
	s_mul_i32 s0, s8, s18
	s_add_i32 s1, s2, s1
	s_lshl_b64 s[0:1], s[0:1], 3
	s_add_u32 s2, s12, s0
	s_addc_u32 s3, s13, s1
	s_lshl_b64 s[0:1], s[14:15], 3
	s_add_u32 s18, s2, s0
	s_addc_u32 s19, s3, s1
	s_mul_i32 s0, s8, s27
	s_mul_hi_u32 s1, s8, s26
	s_add_i32 s1, s1, s0
	s_mul_i32 s0, s8, s26
	s_lshl_b64 s[0:1], s[0:1], 3
	s_add_u32 s2, s20, s0
	s_addc_u32 s3, s21, s1
	s_lshl_b64 s[0:1], s[22:23], 3
	s_add_u32 s20, s2, s0
	s_addc_u32 s21, s3, s1
	s_bitcmp1_b32 s28, 0
	s_mul_i32 s2, s8, s43
	s_mul_hi_u32 s3, s8, s42
	s_cselect_b64 s[0:1], -1, 0
	s_add_i32 s3, s3, s2
	s_mul_i32 s2, s8, s42
	s_lshl_b64 s[2:3], s[2:3], 3
	s_add_u32 s8, s36, s2
	s_addc_u32 s9, s37, s3
	s_lshl_b64 s[2:3], s[38:39], 3
	s_add_u32 s8, s8, s2
	s_addc_u32 s9, s9, s3
	s_load_dword s6, s[4:5], 0x84
	s_cmp_gt_i32 s29, 0
	v_lshlrev_b32_e32 v0, 3, v13
	v_lshlrev_b32_e32 v14, 8, v12
	v_ashrrev_i32_e32 v9, 31, v8
	v_add_u32_e32 v15, v14, v0
	v_or_b32_e32 v16, 0x2000, v0
	v_lshlrev_b64 v[0:1], 3, v[8:9]
	s_cselect_b64 s[4:5], -1, 0
	v_mov_b32_e32 v2, s9
	v_add_co_u32_e32 v9, vcc, s8, v0
	v_cndmask_b32_e64 v0, 0, 1, s[4:5]
	s_mov_b32 s10, s31
	v_add_u32_e32 v17, v16, v14
	v_cmp_gt_i32_e64 s[2:3], s29, v8
	v_addc_co_u32_e32 v18, vcc, v2, v1, vcc
	v_cmp_ne_u32_e64 s[4:5], 1, v0
	v_add_u32_e32 v19, 0x800, v16
	v_add_u32_e32 v20, 0x1000, v16
	;; [unrolled: 1-line block ×3, first 2 shown]
	s_branch .LBB16_4
.LBB16_3:                               ;   in Loop: Header=BB16_4 Depth=1
	s_waitcnt lgkmcnt(0)
	s_add_i32 s7, s7, s6
	s_cmp_gt_i32 s7, s33
	s_cbranch_scc1 .LBB16_13
.LBB16_4:                               ; =>This Loop Header: Depth=1
                                        ;     Child Loop BB16_7 Depth 2
	s_and_b64 vcc, exec, s[4:5]
	s_cbranch_vccnz .LBB16_3
; %bb.5:                                ;   in Loop: Header=BB16_4 Depth=1
	v_lshl_add_u32 v2, s7, 5, v13
	v_ashrrev_i32_e32 v3, 31, v2
	v_mul_lo_u32 v4, v3, s24
	v_mul_lo_u32 v5, v2, s25
	v_mad_u64_u32 v[0:1], s[8:9], v2, s24, 0
	v_add3_u32 v1, v1, v5, v4
	v_lshlrev_b64 v[0:1], 3, v[0:1]
	v_mov_b32_e32 v4, s21
	v_add_co_u32_e64 v22, s[8:9], s20, v0
	v_addc_co_u32_e64 v23, s[8:9], v4, v1, s[8:9]
	v_mul_lo_u32 v3, v3, s40
	v_mul_lo_u32 v4, v2, s41
	v_mad_u64_u32 v[0:1], s[8:9], v2, s40, 0
	v_add3_u32 v1, v1, v4, v3
	v_lshlrev_b64 v[0:1], 3, v[0:1]
	v_cmp_gt_i32_e32 vcc, s30, v2
	v_add_co_u32_e64 v10, s[8:9], v9, v0
	s_and_b64 s[12:13], s[2:3], vcc
	v_addc_co_u32_e64 v11, s[8:9], v18, v1, s[8:9]
	s_mov_b32 s22, 0
	s_branch .LBB16_7
.LBB16_6:                               ;   in Loop: Header=BB16_7 Depth=2
	s_or_b64 exec, exec, s[8:9]
	s_add_i32 s22, s22, 32
	s_cmp_ge_i32 s22, s29
	s_barrier
	s_cbranch_scc1 .LBB16_3
.LBB16_7:                               ;   Parent Loop BB16_4 Depth=1
                                        ; =>  This Inner Loop Header: Depth=2
	v_add_u32_e32 v0, s22, v13
	v_cndmask_b32_e64 v1, v0, v8, s[0:1]
	v_cndmask_b32_e64 v2, v8, v0, s[0:1]
	v_cmp_gt_i32_e64 s[8:9], v1, v2
	v_cndmask_b32_e64 v2, v8, v0, s[8:9]
	v_cndmask_b32_e64 v1, v0, v8, s[8:9]
	v_max_i32_e32 v0, v2, v1
	v_cmp_gt_i32_e64 s[8:9], s29, v0
	v_mov_b32_e32 v0, 0
	v_mov_b32_e32 v4, 0
	;; [unrolled: 1-line block ×3, first 2 shown]
	s_and_saveexec_b64 s[14:15], s[8:9]
	s_cbranch_execz .LBB16_9
; %bb.8:                                ;   in Loop: Header=BB16_7 Depth=2
	v_ashrrev_i32_e32 v3, 31, v1
	v_mul_lo_u32 v6, v1, s17
	v_mul_lo_u32 v3, v3, s16
	v_mad_u64_u32 v[4:5], s[8:9], v1, s16, 0
	v_add3_u32 v5, v5, v6, v3
	v_lshlrev_b64 v[4:5], 3, v[4:5]
	v_ashrrev_i32_e32 v3, 31, v2
	v_mov_b32_e32 v1, s19
	v_add_co_u32_e64 v4, s[8:9], s18, v4
	v_addc_co_u32_e64 v1, s[8:9], v1, v5, s[8:9]
	v_lshlrev_b64 v[2:3], 3, v[2:3]
	v_add_co_u32_e64 v2, s[8:9], v4, v2
	v_addc_co_u32_e64 v3, s[8:9], v1, v3, s[8:9]
	global_load_dwordx2 v[4:5], v[2:3], off
.LBB16_9:                               ;   in Loop: Header=BB16_7 Depth=2
	s_or_b64 exec, exec, s[14:15]
	v_add_u32_e32 v2, s22, v12
	v_cmp_gt_i32_e64 s[8:9], s29, v2
	s_and_b64 s[8:9], s[8:9], vcc
	v_mov_b32_e32 v1, 0
	s_waitcnt vmcnt(0)
	ds_write_b64 v15, v[4:5]
	s_and_saveexec_b64 s[14:15], s[8:9]
	s_cbranch_execz .LBB16_11
; %bb.10:                               ;   in Loop: Header=BB16_7 Depth=2
	v_ashrrev_i32_e32 v3, 31, v2
	v_lshlrev_b64 v[0:1], 3, v[2:3]
	v_add_co_u32_e64 v0, s[8:9], v22, v0
	v_addc_co_u32_e64 v1, s[8:9], v23, v1, s[8:9]
	global_load_dwordx2 v[0:1], v[0:1], off
.LBB16_11:                              ;   in Loop: Header=BB16_7 Depth=2
	s_or_b64 exec, exec, s[14:15]
	s_waitcnt vmcnt(0)
	ds_write_b64 v17, v[0:1]
	s_waitcnt lgkmcnt(0)
	s_barrier
	s_and_saveexec_b64 s[8:9], s[12:13]
	s_cbranch_execz .LBB16_6
; %bb.12:                               ;   in Loop: Header=BB16_7 Depth=2
	ds_read2_b64 v[0:3], v16 offset1:32
	ds_read_b128 v[4:7], v14
	ds_read_b128 v[24:27], v14 offset:16
	ds_read_b128 v[28:31], v14 offset:32
	;; [unrolled: 1-line block ×3, first 2 shown]
	s_waitcnt lgkmcnt(3)
	v_mul_f32_e32 v36, v1, v5
	v_fma_f32 v36, v0, v4, -v36
	v_mul_f32_e32 v0, v0, v5
	v_fmac_f32_e32 v0, v1, v4
	v_add_f32_e32 v1, 0, v36
	ds_read2_b64 v[36:39], v16 offset0:64 offset1:96
	v_mul_f32_e32 v4, v3, v7
	v_fma_f32 v4, v2, v6, -v4
	v_mul_f32_e32 v2, v2, v7
	v_add_f32_e32 v0, 0, v0
	v_fmac_f32_e32 v2, v3, v6
	s_waitcnt lgkmcnt(0)
	v_mul_f32_e32 v3, v36, v25
	v_add_f32_e32 v0, v0, v2
	v_mul_f32_e32 v2, v37, v25
	v_fmac_f32_e32 v3, v37, v24
	v_add_f32_e32 v1, v1, v4
	v_fma_f32 v2, v36, v24, -v2
	v_add_f32_e32 v5, v0, v3
	v_mul_f32_e32 v0, v39, v27
	v_add_f32_e32 v4, v1, v2
	v_fma_f32 v6, v38, v26, -v0
	ds_read2_b64 v[0:3], v16 offset0:128 offset1:160
	v_mul_f32_e32 v7, v38, v27
	v_add_f32_e32 v4, v4, v6
	v_fmac_f32_e32 v7, v39, v26
	v_add_f32_e32 v5, v5, v7
	s_waitcnt lgkmcnt(0)
	v_mul_f32_e32 v6, v1, v29
	v_fma_f32 v6, v0, v28, -v6
	v_mul_f32_e32 v0, v0, v29
	v_fmac_f32_e32 v0, v1, v28
	v_add_f32_e32 v1, v4, v6
	v_mul_f32_e32 v4, v3, v31
	v_add_f32_e32 v0, v5, v0
	v_fma_f32 v24, v2, v30, -v4
	ds_read2_b64 v[4:7], v16 offset0:192 offset1:224
	v_mul_f32_e32 v2, v2, v31
	v_fmac_f32_e32 v2, v3, v30
	v_add_f32_e32 v0, v0, v2
	v_add_f32_e32 v1, v1, v24
	s_waitcnt lgkmcnt(0)
	v_mul_f32_e32 v3, v4, v33
	v_mul_f32_e32 v2, v5, v33
	v_fmac_f32_e32 v3, v5, v32
	v_fma_f32 v2, v4, v32, -v2
	v_add_f32_e32 v5, v0, v3
	v_mul_f32_e32 v0, v7, v35
	v_add_f32_e32 v4, v1, v2
	v_fma_f32 v28, v6, v34, -v0
	ds_read2_b64 v[0:3], v19 offset1:32
	ds_read_b128 v[24:27], v14 offset:64
	v_mul_f32_e32 v6, v6, v35
	v_fmac_f32_e32 v6, v7, v34
	v_add_f32_e32 v28, v4, v28
	v_add_f32_e32 v29, v5, v6
	s_waitcnt lgkmcnt(0)
	v_mul_f32_e32 v30, v1, v25
	v_fma_f32 v30, v0, v24, -v30
	v_mul_f32_e32 v0, v0, v25
	v_fmac_f32_e32 v0, v1, v24
	ds_read_b128 v[4:7], v14 offset:80
	v_add_f32_e32 v1, v28, v30
	v_add_f32_e32 v0, v29, v0
	ds_read2_b64 v[28:31], v19 offset0:64 offset1:96
	v_mul_f32_e32 v24, v3, v27
	v_fma_f32 v24, v2, v26, -v24
	v_mul_f32_e32 v2, v2, v27
	v_fmac_f32_e32 v2, v3, v26
	s_waitcnt lgkmcnt(0)
	v_mul_f32_e32 v3, v28, v5
	v_add_f32_e32 v0, v0, v2
	v_mul_f32_e32 v2, v29, v5
	v_fmac_f32_e32 v3, v29, v4
	v_add_f32_e32 v1, v1, v24
	v_fma_f32 v2, v28, v4, -v2
	v_add_f32_e32 v5, v0, v3
	v_mul_f32_e32 v0, v31, v7
	v_add_f32_e32 v4, v1, v2
	v_fma_f32 v28, v30, v6, -v0
	ds_read2_b64 v[0:3], v19 offset0:128 offset1:160
	ds_read_b128 v[24:27], v14 offset:96
	v_mul_f32_e32 v7, v30, v7
	v_fmac_f32_e32 v7, v31, v6
	v_add_f32_e32 v28, v4, v28
	v_add_f32_e32 v29, v5, v7
	s_waitcnt lgkmcnt(0)
	v_mul_f32_e32 v30, v1, v25
	v_fma_f32 v30, v0, v24, -v30
	v_mul_f32_e32 v0, v0, v25
	v_fmac_f32_e32 v0, v1, v24
	ds_read_b128 v[4:7], v14 offset:112
	v_add_f32_e32 v1, v28, v30
	v_add_f32_e32 v0, v29, v0
	ds_read2_b64 v[28:31], v19 offset0:192 offset1:224
	v_mul_f32_e32 v24, v3, v27
	v_fma_f32 v24, v2, v26, -v24
	v_mul_f32_e32 v2, v2, v27
	v_fmac_f32_e32 v2, v3, v26
	s_waitcnt lgkmcnt(0)
	v_mul_f32_e32 v3, v28, v5
	v_add_f32_e32 v0, v0, v2
	v_mul_f32_e32 v2, v29, v5
	v_fmac_f32_e32 v3, v29, v4
	v_add_f32_e32 v1, v1, v24
	v_fma_f32 v2, v28, v4, -v2
	v_add_f32_e32 v5, v0, v3
	v_mul_f32_e32 v0, v31, v7
	v_add_f32_e32 v4, v1, v2
	v_fma_f32 v28, v30, v6, -v0
	ds_read2_b64 v[0:3], v20 offset1:32
	ds_read_b128 v[24:27], v14 offset:128
	v_mul_f32_e32 v7, v30, v7
	v_fmac_f32_e32 v7, v31, v6
	v_add_f32_e32 v4, v4, v28
	ds_read_b128 v[28:31], v14 offset:144
	ds_read2_b64 v[32:35], v20 offset0:64 offset1:96
	s_waitcnt lgkmcnt(2)
	v_mul_f32_e32 v6, v1, v25
	v_fma_f32 v6, v0, v24, -v6
	v_mul_f32_e32 v0, v0, v25
	v_fmac_f32_e32 v0, v1, v24
	v_add_f32_e32 v1, v4, v6
	v_mul_f32_e32 v4, v3, v27
	v_add_f32_e32 v5, v5, v7
	v_fma_f32 v4, v2, v26, -v4
	v_mul_f32_e32 v2, v2, v27
	v_add_f32_e32 v0, v5, v0
	v_fmac_f32_e32 v2, v3, v26
	s_waitcnt lgkmcnt(0)
	v_mul_f32_e32 v3, v32, v29
	v_add_f32_e32 v0, v0, v2
	v_mul_f32_e32 v2, v33, v29
	v_fmac_f32_e32 v3, v33, v28
	v_add_f32_e32 v1, v1, v4
	v_fma_f32 v2, v32, v28, -v2
	v_add_f32_e32 v25, v0, v3
	v_mul_f32_e32 v0, v35, v31
	v_add_f32_e32 v24, v1, v2
	v_fma_f32 v26, v34, v30, -v0
	ds_read2_b64 v[0:3], v20 offset0:128 offset1:160
	ds_read_b128 v[4:7], v14 offset:160
	global_load_dwordx2 v[32:33], v[10:11], off
	v_mul_f32_e32 v27, v34, v31
	v_fmac_f32_e32 v27, v35, v30
	v_add_f32_e32 v28, v24, v26
	s_waitcnt lgkmcnt(0)
	v_mul_f32_e32 v30, v1, v5
	v_fma_f32 v30, v0, v4, -v30
	v_mul_f32_e32 v0, v0, v5
	v_add_f32_e32 v29, v25, v27
	v_fmac_f32_e32 v0, v1, v4
	ds_read_b128 v[24:27], v14 offset:176
	v_add_f32_e32 v1, v28, v30
	v_add_f32_e32 v0, v29, v0
	ds_read2_b64 v[28:31], v20 offset0:192 offset1:224
	v_mul_f32_e32 v4, v3, v7
	v_fma_f32 v4, v2, v6, -v4
	v_mul_f32_e32 v2, v2, v7
	v_fmac_f32_e32 v2, v3, v6
	s_waitcnt lgkmcnt(0)
	v_mul_f32_e32 v3, v28, v25
	v_add_f32_e32 v0, v0, v2
	v_mul_f32_e32 v2, v29, v25
	v_fmac_f32_e32 v3, v29, v24
	v_add_f32_e32 v1, v1, v4
	v_fma_f32 v2, v28, v24, -v2
	v_add_f32_e32 v25, v0, v3
	v_mul_f32_e32 v0, v31, v27
	v_add_f32_e32 v24, v1, v2
	v_fma_f32 v28, v30, v26, -v0
	ds_read2_b64 v[0:3], v21 offset1:32
	ds_read_b128 v[4:7], v14 offset:192
	v_mul_f32_e32 v27, v30, v27
	v_fmac_f32_e32 v27, v31, v26
	v_add_f32_e32 v28, v24, v28
	v_add_f32_e32 v29, v25, v27
	s_waitcnt lgkmcnt(0)
	v_mul_f32_e32 v30, v1, v5
	v_fma_f32 v30, v0, v4, -v30
	v_mul_f32_e32 v0, v0, v5
	v_fmac_f32_e32 v0, v1, v4
	ds_read_b128 v[24:27], v14 offset:208
	v_add_f32_e32 v1, v28, v30
	v_add_f32_e32 v0, v29, v0
	ds_read2_b64 v[28:31], v21 offset0:64 offset1:96
	v_mul_f32_e32 v4, v3, v7
	v_fma_f32 v4, v2, v6, -v4
	v_mul_f32_e32 v2, v2, v7
	v_fmac_f32_e32 v2, v3, v6
	s_waitcnt lgkmcnt(0)
	v_mul_f32_e32 v3, v28, v25
	v_add_f32_e32 v0, v0, v2
	v_mul_f32_e32 v2, v29, v25
	v_fmac_f32_e32 v3, v29, v24
	v_add_f32_e32 v1, v1, v4
	v_fma_f32 v2, v28, v24, -v2
	v_add_f32_e32 v25, v0, v3
	v_mul_f32_e32 v0, v31, v27
	v_add_f32_e32 v24, v1, v2
	v_fma_f32 v28, v30, v26, -v0
	ds_read2_b64 v[0:3], v21 offset0:128 offset1:160
	ds_read_b128 v[4:7], v14 offset:224
	v_mul_f32_e32 v27, v30, v27
	v_fmac_f32_e32 v27, v31, v26
	v_add_f32_e32 v28, v24, v28
	v_add_f32_e32 v29, v25, v27
	s_waitcnt lgkmcnt(0)
	v_mul_f32_e32 v30, v1, v5
	v_fma_f32 v30, v0, v4, -v30
	v_mul_f32_e32 v0, v0, v5
	v_fmac_f32_e32 v0, v1, v4
	ds_read_b128 v[24:27], v14 offset:240
	v_add_f32_e32 v1, v28, v30
	v_add_f32_e32 v0, v29, v0
	ds_read2_b64 v[28:31], v21 offset0:192 offset1:224
	v_mul_f32_e32 v4, v3, v7
	v_fma_f32 v4, v2, v6, -v4
	v_mul_f32_e32 v2, v2, v7
	v_fmac_f32_e32 v2, v3, v6
	v_add_f32_e32 v0, v0, v2
	s_waitcnt lgkmcnt(0)
	v_mul_f32_e32 v2, v29, v25
	v_mul_f32_e32 v3, v28, v25
	v_add_f32_e32 v1, v1, v4
	v_fma_f32 v2, v28, v24, -v2
	v_fmac_f32_e32 v3, v29, v24
	v_add_f32_e32 v1, v1, v2
	v_add_f32_e32 v2, v0, v3
	v_mul_f32_e32 v3, v30, v27
	v_mul_f32_e32 v0, v31, v27
	v_fmac_f32_e32 v3, v31, v26
	v_fma_f32 v0, v30, v26, -v0
	v_add_f32_e32 v2, v2, v3
	v_add_f32_e32 v0, v1, v0
	v_pk_mul_f32 v[2:3], s[10:11], v[2:3] op_sel_hi:[1,0]
	v_pk_fma_f32 v[4:5], s[10:11], v[0:1], v[2:3] op_sel:[0,0,1] op_sel_hi:[1,1,0] neg_lo:[0,0,1] neg_hi:[0,0,1]
	v_pk_fma_f32 v[0:1], s[10:11], v[0:1], v[2:3] op_sel:[0,0,1] op_sel_hi:[1,0,0]
	v_mov_b32_e32 v5, v1
	s_waitcnt vmcnt(0)
	v_pk_add_f32 v[0:1], v[32:33], v[4:5]
	global_store_dwordx2 v[10:11], v[0:1], off
	s_branch .LBB16_6
.LBB16_13:
	s_endpgm
	.section	.rodata,"a",@progbits
	.p2align	6, 0x0
	.amdhsa_kernel _ZL24rocblas_symm_hemm_kernelILb0ELb0ELi32E19rocblas_complex_numIfEPKS1_PS1_EvbiiT2_T3_lllS6_lllT4_llli
		.amdhsa_group_segment_fixed_size 16384
		.amdhsa_private_segment_fixed_size 0
		.amdhsa_kernarg_size 384
		.amdhsa_user_sgpr_count 6
		.amdhsa_user_sgpr_private_segment_buffer 1
		.amdhsa_user_sgpr_dispatch_ptr 0
		.amdhsa_user_sgpr_queue_ptr 0
		.amdhsa_user_sgpr_kernarg_segment_ptr 1
		.amdhsa_user_sgpr_dispatch_id 0
		.amdhsa_user_sgpr_flat_scratch_init 0
		.amdhsa_user_sgpr_kernarg_preload_length 0
		.amdhsa_user_sgpr_kernarg_preload_offset 0
		.amdhsa_user_sgpr_private_segment_size 0
		.amdhsa_uses_dynamic_stack 0
		.amdhsa_system_sgpr_private_segment_wavefront_offset 0
		.amdhsa_system_sgpr_workgroup_id_x 1
		.amdhsa_system_sgpr_workgroup_id_y 1
		.amdhsa_system_sgpr_workgroup_id_z 1
		.amdhsa_system_sgpr_workgroup_info 0
		.amdhsa_system_vgpr_workitem_id 1
		.amdhsa_next_free_vgpr 40
		.amdhsa_next_free_sgpr 44
		.amdhsa_accum_offset 40
		.amdhsa_reserve_vcc 1
		.amdhsa_reserve_flat_scratch 0
		.amdhsa_float_round_mode_32 0
		.amdhsa_float_round_mode_16_64 0
		.amdhsa_float_denorm_mode_32 3
		.amdhsa_float_denorm_mode_16_64 3
		.amdhsa_dx10_clamp 1
		.amdhsa_ieee_mode 1
		.amdhsa_fp16_overflow 0
		.amdhsa_tg_split 0
		.amdhsa_exception_fp_ieee_invalid_op 0
		.amdhsa_exception_fp_denorm_src 0
		.amdhsa_exception_fp_ieee_div_zero 0
		.amdhsa_exception_fp_ieee_overflow 0
		.amdhsa_exception_fp_ieee_underflow 0
		.amdhsa_exception_fp_ieee_inexact 0
		.amdhsa_exception_int_div_zero 0
	.end_amdhsa_kernel
	.section	.text._ZL24rocblas_symm_hemm_kernelILb0ELb0ELi32E19rocblas_complex_numIfEPKS1_PS1_EvbiiT2_T3_lllS6_lllT4_llli,"axG",@progbits,_ZL24rocblas_symm_hemm_kernelILb0ELb0ELi32E19rocblas_complex_numIfEPKS1_PS1_EvbiiT2_T3_lllS6_lllT4_llli,comdat
.Lfunc_end16:
	.size	_ZL24rocblas_symm_hemm_kernelILb0ELb0ELi32E19rocblas_complex_numIfEPKS1_PS1_EvbiiT2_T3_lllS6_lllT4_llli, .Lfunc_end16-_ZL24rocblas_symm_hemm_kernelILb0ELb0ELi32E19rocblas_complex_numIfEPKS1_PS1_EvbiiT2_T3_lllS6_lllT4_llli
                                        ; -- End function
	.section	.AMDGPU.csdata,"",@progbits
; Kernel info:
; codeLenInByte = 2124
; NumSgprs: 48
; NumVgprs: 40
; NumAgprs: 0
; TotalNumVgprs: 40
; ScratchSize: 0
; MemoryBound: 0
; FloatMode: 240
; IeeeMode: 1
; LDSByteSize: 16384 bytes/workgroup (compile time only)
; SGPRBlocks: 5
; VGPRBlocks: 4
; NumSGPRsForWavesPerEU: 48
; NumVGPRsForWavesPerEU: 40
; AccumOffset: 40
; Occupancy: 8
; WaveLimiterHint : 0
; COMPUTE_PGM_RSRC2:SCRATCH_EN: 0
; COMPUTE_PGM_RSRC2:USER_SGPR: 6
; COMPUTE_PGM_RSRC2:TRAP_HANDLER: 0
; COMPUTE_PGM_RSRC2:TGID_X_EN: 1
; COMPUTE_PGM_RSRC2:TGID_Y_EN: 1
; COMPUTE_PGM_RSRC2:TGID_Z_EN: 1
; COMPUTE_PGM_RSRC2:TIDIG_COMP_CNT: 1
; COMPUTE_PGM_RSRC3_GFX90A:ACCUM_OFFSET: 9
; COMPUTE_PGM_RSRC3_GFX90A:TG_SPLIT: 0
	.section	.text._ZL24rocblas_symm_hemm_kernelILb0ELb1ELi32E19rocblas_complex_numIfEPKS1_PS1_EvbiiT2_T3_lllS6_lllT4_llli,"axG",@progbits,_ZL24rocblas_symm_hemm_kernelILb0ELb1ELi32E19rocblas_complex_numIfEPKS1_PS1_EvbiiT2_T3_lllS6_lllT4_llli,comdat
	.globl	_ZL24rocblas_symm_hemm_kernelILb0ELb1ELi32E19rocblas_complex_numIfEPKS1_PS1_EvbiiT2_T3_lllS6_lllT4_llli ; -- Begin function _ZL24rocblas_symm_hemm_kernelILb0ELb1ELi32E19rocblas_complex_numIfEPKS1_PS1_EvbiiT2_T3_lllS6_lllT4_llli
	.p2align	8
	.type	_ZL24rocblas_symm_hemm_kernelILb0ELb1ELi32E19rocblas_complex_numIfEPKS1_PS1_EvbiiT2_T3_lllS6_lllT4_llli,@function
_ZL24rocblas_symm_hemm_kernelILb0ELb1ELi32E19rocblas_complex_numIfEPKS1_PS1_EvbiiT2_T3_lllS6_lllT4_llli: ; @_ZL24rocblas_symm_hemm_kernelILb0ELb1ELi32E19rocblas_complex_numIfEPKS1_PS1_EvbiiT2_T3_lllS6_lllT4_llli
; %bb.0:
	s_load_dwordx4 s[28:31], s[4:5], 0x0
	s_load_dword s11, s[4:5], 0x10
	s_waitcnt lgkmcnt(0)
	v_cmp_eq_f32_e64 s[0:1], s31, 0
	v_cmp_eq_f32_e64 s[2:3], s11, 0
	s_and_b64 s[0:1], s[0:1], s[2:3]
	s_and_b64 vcc, exec, s[0:1]
	s_cbranch_vccnz .LBB17_13
; %bb.1:
	s_add_i32 s0, s30, -1
	s_ashr_i32 s1, s0, 31
	s_lshr_b32 s1, s1, 27
	s_add_i32 s0, s0, s1
	s_ashr_i32 s33, s0, 5
	s_cmp_gt_i32 s7, s33
	s_cbranch_scc1 .LBB17_13
; %bb.2:
	s_load_dwordx16 s[12:27], s[4:5], 0x18
	s_load_dwordx8 s[36:43], s[4:5], 0x58
	v_and_b32_e32 v10, 0x3ff, v0
	v_lshl_add_u32 v2, s6, 5, v10
	v_ashrrev_i32_e32 v3, 31, v2
	s_waitcnt lgkmcnt(0)
	s_mul_i32 s1, s8, s19
	s_mul_hi_u32 s2, s8, s18
	s_mul_i32 s0, s8, s18
	s_add_i32 s1, s2, s1
	s_lshl_b64 s[0:1], s[0:1], 3
	s_add_u32 s2, s12, s0
	s_addc_u32 s3, s13, s1
	s_lshl_b64 s[0:1], s[14:15], 3
	s_add_u32 s14, s2, s0
	s_addc_u32 s15, s3, s1
	s_bitcmp1_b32 s28, 0
	s_mul_i32 s2, s8, s43
	s_mul_hi_u32 s3, s8, s42
	s_cselect_b64 s[0:1], -1, 0
	s_add_i32 s3, s3, s2
	s_mul_i32 s2, s8, s42
	s_lshl_b64 s[2:3], s[2:3], 3
	s_add_u32 s9, s36, s2
	s_addc_u32 s12, s37, s3
	s_lshl_b64 s[2:3], s[38:39], 3
	s_add_u32 s9, s9, s2
	s_addc_u32 s12, s12, s3
	s_mul_i32 s2, s8, s27
	s_mul_hi_u32 s3, s8, s26
	s_add_i32 s3, s3, s2
	s_mul_i32 s2, s8, s26
	s_lshl_b64 s[2:3], s[2:3], 3
	s_add_u32 s8, s20, s2
	s_addc_u32 s13, s21, s3
	s_lshl_b64 s[2:3], s[22:23], 3
	s_add_u32 s8, s8, s2
	s_addc_u32 s13, s13, s3
	v_bfe_u32 v11, v0, 10, 10
	v_lshlrev_b64 v[0:1], 3, v[2:3]
	s_load_dword s6, s[4:5], 0x84
	s_cmp_gt_i32 s30, 0
	v_cmp_gt_i32_e64 s[2:3], s29, v2
	v_mov_b32_e32 v2, s13
	v_add_co_u32_e32 v12, vcc, s8, v0
	v_addc_co_u32_e32 v13, vcc, v2, v1, vcc
	v_lshlrev_b32_e32 v2, 3, v11
	v_lshlrev_b32_e32 v14, 8, v10
	s_cselect_b64 s[4:5], -1, 0
	v_add_u32_e32 v15, v14, v2
	v_or_b32_e32 v16, 0x2000, v2
	v_mov_b32_e32 v2, s12
	v_add_co_u32_e32 v18, vcc, s9, v0
	v_cndmask_b32_e64 v0, 0, 1, s[4:5]
	s_mov_b32 s10, s31
	v_add_u32_e32 v17, v16, v14
	v_addc_co_u32_e32 v19, vcc, v2, v1, vcc
	v_cmp_ne_u32_e64 s[4:5], 1, v0
	v_add_u32_e32 v20, 0x800, v16
	v_add_u32_e32 v21, 0x1000, v16
	;; [unrolled: 1-line block ×3, first 2 shown]
	s_branch .LBB17_4
.LBB17_3:                               ;   in Loop: Header=BB17_4 Depth=1
	s_waitcnt lgkmcnt(0)
	s_add_i32 s7, s7, s6
	s_cmp_gt_i32 s7, s33
	s_cbranch_scc1 .LBB17_13
.LBB17_4:                               ; =>This Loop Header: Depth=1
                                        ;     Child Loop BB17_7 Depth 2
	s_and_b64 vcc, exec, s[4:5]
	s_cbranch_vccnz .LBB17_3
; %bb.5:                                ;   in Loop: Header=BB17_4 Depth=1
	v_lshl_add_u32 v23, s7, 5, v11
	v_ashrrev_i32_e32 v0, 31, v23
	v_mul_lo_u32 v2, v0, s40
	v_mul_lo_u32 v3, v23, s41
	v_mad_u64_u32 v[0:1], s[12:13], v23, s40, 0
	v_add3_u32 v1, v1, v3, v2
	v_cmp_gt_i32_e32 vcc, s30, v23
	v_lshlrev_b64 v[0:1], 3, v[0:1]
	s_and_b64 s[8:9], s[2:3], vcc
	v_add_co_u32_e32 v8, vcc, v18, v0
	v_addc_co_u32_e32 v9, vcc, v19, v1, vcc
	s_mov_b32 s18, 0
	s_branch .LBB17_7
.LBB17_6:                               ;   in Loop: Header=BB17_7 Depth=2
	s_or_b64 exec, exec, s[12:13]
	s_add_i32 s18, s18, 32
	s_cmp_ge_i32 s18, s30
	s_barrier
	s_cbranch_scc1 .LBB17_3
.LBB17_7:                               ;   Parent Loop BB17_4 Depth=1
                                        ; =>  This Inner Loop Header: Depth=2
	v_add_u32_e32 v1, s18, v11
	v_cmp_gt_i32_e32 vcc, s30, v1
	s_and_b64 s[20:21], s[2:3], vcc
	v_mov_b32_e32 v0, 0
	v_mov_b32_e32 v2, 0
	;; [unrolled: 1-line block ×3, first 2 shown]
	s_and_saveexec_b64 s[12:13], s[20:21]
	s_cbranch_execz .LBB17_9
; %bb.8:                                ;   in Loop: Header=BB17_7 Depth=2
	v_ashrrev_i32_e32 v2, 31, v1
	v_mul_lo_u32 v4, v1, s25
	v_mul_lo_u32 v5, v2, s24
	v_mad_u64_u32 v[2:3], s[20:21], v1, s24, 0
	v_add3_u32 v3, v3, v4, v5
	v_lshlrev_b64 v[2:3], 3, v[2:3]
	v_add_co_u32_e32 v2, vcc, v12, v2
	v_addc_co_u32_e32 v3, vcc, v13, v3, vcc
	global_load_dwordx2 v[2:3], v[2:3], off
.LBB17_9:                               ;   in Loop: Header=BB17_7 Depth=2
	s_or_b64 exec, exec, s[12:13]
	v_add_u32_e32 v1, s18, v10
	s_waitcnt vmcnt(0)
	ds_write_b64 v15, v[2:3]
	v_cndmask_b32_e64 v2, v23, v1, s[0:1]
	v_cndmask_b32_e64 v3, v1, v23, s[0:1]
	v_cmp_gt_i32_e32 vcc, v2, v3
	v_cndmask_b32_e32 v2, v1, v23, vcc
	v_cndmask_b32_e32 v3, v23, v1, vcc
	v_max_i32_e32 v1, v2, v3
	v_cmp_gt_i32_e32 vcc, s30, v1
	v_mov_b32_e32 v1, 0
	s_and_saveexec_b64 s[12:13], vcc
	s_cbranch_execz .LBB17_11
; %bb.10:                               ;   in Loop: Header=BB17_7 Depth=2
	v_ashrrev_i32_e32 v0, 31, v3
	v_mul_lo_u32 v4, v3, s17
	v_mul_lo_u32 v5, v0, s16
	v_mad_u64_u32 v[0:1], s[20:21], v3, s16, 0
	v_add3_u32 v1, v1, v4, v5
	v_lshlrev_b64 v[0:1], 3, v[0:1]
	v_ashrrev_i32_e32 v3, 31, v2
	v_mov_b32_e32 v4, s15
	v_add_co_u32_e32 v5, vcc, s14, v0
	v_addc_co_u32_e32 v4, vcc, v4, v1, vcc
	v_lshlrev_b64 v[0:1], 3, v[2:3]
	v_add_co_u32_e32 v0, vcc, v5, v0
	v_addc_co_u32_e32 v1, vcc, v4, v1, vcc
	global_load_dwordx2 v[0:1], v[0:1], off
.LBB17_11:                              ;   in Loop: Header=BB17_7 Depth=2
	s_or_b64 exec, exec, s[12:13]
	s_waitcnt vmcnt(0)
	ds_write_b64 v17, v[0:1]
	s_waitcnt lgkmcnt(0)
	s_barrier
	s_and_saveexec_b64 s[12:13], s[8:9]
	s_cbranch_execz .LBB17_6
; %bb.12:                               ;   in Loop: Header=BB17_7 Depth=2
	ds_read2_b64 v[0:3], v16 offset1:32
	ds_read_b128 v[4:7], v14
	ds_read_b128 v[24:27], v14 offset:16
	ds_read_b128 v[28:31], v14 offset:32
	;; [unrolled: 1-line block ×3, first 2 shown]
	s_waitcnt lgkmcnt(3)
	v_mul_f32_e32 v36, v1, v5
	v_fma_f32 v36, v0, v4, -v36
	v_mul_f32_e32 v0, v0, v5
	v_fmac_f32_e32 v0, v1, v4
	v_add_f32_e32 v1, 0, v36
	ds_read2_b64 v[36:39], v16 offset0:64 offset1:96
	v_mul_f32_e32 v4, v3, v7
	v_fma_f32 v4, v2, v6, -v4
	v_mul_f32_e32 v2, v2, v7
	v_add_f32_e32 v0, 0, v0
	v_fmac_f32_e32 v2, v3, v6
	s_waitcnt lgkmcnt(0)
	v_mul_f32_e32 v3, v36, v25
	v_add_f32_e32 v0, v0, v2
	v_mul_f32_e32 v2, v37, v25
	v_fmac_f32_e32 v3, v37, v24
	v_add_f32_e32 v1, v1, v4
	v_fma_f32 v2, v36, v24, -v2
	v_add_f32_e32 v5, v0, v3
	v_mul_f32_e32 v0, v39, v27
	v_add_f32_e32 v4, v1, v2
	v_fma_f32 v6, v38, v26, -v0
	ds_read2_b64 v[0:3], v16 offset0:128 offset1:160
	v_mul_f32_e32 v7, v38, v27
	v_add_f32_e32 v4, v4, v6
	v_fmac_f32_e32 v7, v39, v26
	v_add_f32_e32 v5, v5, v7
	s_waitcnt lgkmcnt(0)
	v_mul_f32_e32 v6, v1, v29
	v_fma_f32 v6, v0, v28, -v6
	v_mul_f32_e32 v0, v0, v29
	v_fmac_f32_e32 v0, v1, v28
	v_add_f32_e32 v1, v4, v6
	v_mul_f32_e32 v4, v3, v31
	v_add_f32_e32 v0, v5, v0
	v_fma_f32 v24, v2, v30, -v4
	ds_read2_b64 v[4:7], v16 offset0:192 offset1:224
	v_mul_f32_e32 v2, v2, v31
	v_fmac_f32_e32 v2, v3, v30
	v_add_f32_e32 v0, v0, v2
	v_add_f32_e32 v1, v1, v24
	s_waitcnt lgkmcnt(0)
	v_mul_f32_e32 v3, v4, v33
	v_mul_f32_e32 v2, v5, v33
	v_fmac_f32_e32 v3, v5, v32
	v_fma_f32 v2, v4, v32, -v2
	v_add_f32_e32 v5, v0, v3
	v_mul_f32_e32 v0, v7, v35
	v_add_f32_e32 v4, v1, v2
	v_fma_f32 v28, v6, v34, -v0
	ds_read2_b64 v[0:3], v20 offset1:32
	ds_read_b128 v[24:27], v14 offset:64
	v_mul_f32_e32 v6, v6, v35
	v_fmac_f32_e32 v6, v7, v34
	v_add_f32_e32 v28, v4, v28
	v_add_f32_e32 v29, v5, v6
	s_waitcnt lgkmcnt(0)
	v_mul_f32_e32 v30, v1, v25
	v_fma_f32 v30, v0, v24, -v30
	v_mul_f32_e32 v0, v0, v25
	v_fmac_f32_e32 v0, v1, v24
	ds_read_b128 v[4:7], v14 offset:80
	v_add_f32_e32 v1, v28, v30
	v_add_f32_e32 v0, v29, v0
	ds_read2_b64 v[28:31], v20 offset0:64 offset1:96
	v_mul_f32_e32 v24, v3, v27
	v_fma_f32 v24, v2, v26, -v24
	v_mul_f32_e32 v2, v2, v27
	v_fmac_f32_e32 v2, v3, v26
	s_waitcnt lgkmcnt(0)
	v_mul_f32_e32 v3, v28, v5
	v_add_f32_e32 v0, v0, v2
	v_mul_f32_e32 v2, v29, v5
	v_fmac_f32_e32 v3, v29, v4
	v_add_f32_e32 v1, v1, v24
	v_fma_f32 v2, v28, v4, -v2
	v_add_f32_e32 v5, v0, v3
	v_mul_f32_e32 v0, v31, v7
	v_add_f32_e32 v4, v1, v2
	v_fma_f32 v28, v30, v6, -v0
	ds_read2_b64 v[0:3], v20 offset0:128 offset1:160
	ds_read_b128 v[24:27], v14 offset:96
	v_mul_f32_e32 v7, v30, v7
	v_fmac_f32_e32 v7, v31, v6
	v_add_f32_e32 v28, v4, v28
	v_add_f32_e32 v29, v5, v7
	s_waitcnt lgkmcnt(0)
	v_mul_f32_e32 v30, v1, v25
	v_fma_f32 v30, v0, v24, -v30
	v_mul_f32_e32 v0, v0, v25
	v_fmac_f32_e32 v0, v1, v24
	ds_read_b128 v[4:7], v14 offset:112
	v_add_f32_e32 v1, v28, v30
	v_add_f32_e32 v0, v29, v0
	ds_read2_b64 v[28:31], v20 offset0:192 offset1:224
	v_mul_f32_e32 v24, v3, v27
	v_fma_f32 v24, v2, v26, -v24
	v_mul_f32_e32 v2, v2, v27
	v_fmac_f32_e32 v2, v3, v26
	s_waitcnt lgkmcnt(0)
	v_mul_f32_e32 v3, v28, v5
	v_add_f32_e32 v0, v0, v2
	v_mul_f32_e32 v2, v29, v5
	v_fmac_f32_e32 v3, v29, v4
	v_add_f32_e32 v1, v1, v24
	v_fma_f32 v2, v28, v4, -v2
	v_add_f32_e32 v5, v0, v3
	v_mul_f32_e32 v0, v31, v7
	v_add_f32_e32 v4, v1, v2
	v_fma_f32 v28, v30, v6, -v0
	ds_read2_b64 v[0:3], v21 offset1:32
	ds_read_b128 v[24:27], v14 offset:128
	v_mul_f32_e32 v7, v30, v7
	v_fmac_f32_e32 v7, v31, v6
	v_add_f32_e32 v4, v4, v28
	ds_read_b128 v[28:31], v14 offset:144
	ds_read2_b64 v[32:35], v21 offset0:64 offset1:96
	s_waitcnt lgkmcnt(2)
	v_mul_f32_e32 v6, v1, v25
	v_fma_f32 v6, v0, v24, -v6
	v_mul_f32_e32 v0, v0, v25
	v_fmac_f32_e32 v0, v1, v24
	v_add_f32_e32 v1, v4, v6
	v_mul_f32_e32 v4, v3, v27
	v_add_f32_e32 v5, v5, v7
	v_fma_f32 v4, v2, v26, -v4
	v_mul_f32_e32 v2, v2, v27
	v_add_f32_e32 v0, v5, v0
	v_fmac_f32_e32 v2, v3, v26
	s_waitcnt lgkmcnt(0)
	v_mul_f32_e32 v3, v32, v29
	v_add_f32_e32 v0, v0, v2
	v_mul_f32_e32 v2, v33, v29
	v_fmac_f32_e32 v3, v33, v28
	v_add_f32_e32 v1, v1, v4
	v_fma_f32 v2, v32, v28, -v2
	v_add_f32_e32 v25, v0, v3
	v_mul_f32_e32 v0, v35, v31
	v_add_f32_e32 v24, v1, v2
	v_fma_f32 v26, v34, v30, -v0
	ds_read2_b64 v[0:3], v21 offset0:128 offset1:160
	ds_read_b128 v[4:7], v14 offset:160
	global_load_dwordx2 v[32:33], v[8:9], off
	v_mul_f32_e32 v27, v34, v31
	v_fmac_f32_e32 v27, v35, v30
	v_add_f32_e32 v28, v24, v26
	s_waitcnt lgkmcnt(0)
	v_mul_f32_e32 v30, v1, v5
	v_fma_f32 v30, v0, v4, -v30
	v_mul_f32_e32 v0, v0, v5
	v_add_f32_e32 v29, v25, v27
	v_fmac_f32_e32 v0, v1, v4
	ds_read_b128 v[24:27], v14 offset:176
	v_add_f32_e32 v1, v28, v30
	v_add_f32_e32 v0, v29, v0
	ds_read2_b64 v[28:31], v21 offset0:192 offset1:224
	v_mul_f32_e32 v4, v3, v7
	v_fma_f32 v4, v2, v6, -v4
	v_mul_f32_e32 v2, v2, v7
	v_fmac_f32_e32 v2, v3, v6
	s_waitcnt lgkmcnt(0)
	v_mul_f32_e32 v3, v28, v25
	v_add_f32_e32 v0, v0, v2
	v_mul_f32_e32 v2, v29, v25
	v_fmac_f32_e32 v3, v29, v24
	v_add_f32_e32 v1, v1, v4
	v_fma_f32 v2, v28, v24, -v2
	v_add_f32_e32 v25, v0, v3
	v_mul_f32_e32 v0, v31, v27
	v_add_f32_e32 v24, v1, v2
	v_fma_f32 v28, v30, v26, -v0
	ds_read2_b64 v[0:3], v22 offset1:32
	ds_read_b128 v[4:7], v14 offset:192
	v_mul_f32_e32 v27, v30, v27
	v_fmac_f32_e32 v27, v31, v26
	v_add_f32_e32 v28, v24, v28
	v_add_f32_e32 v29, v25, v27
	s_waitcnt lgkmcnt(0)
	v_mul_f32_e32 v30, v1, v5
	v_fma_f32 v30, v0, v4, -v30
	v_mul_f32_e32 v0, v0, v5
	v_fmac_f32_e32 v0, v1, v4
	ds_read_b128 v[24:27], v14 offset:208
	v_add_f32_e32 v1, v28, v30
	v_add_f32_e32 v0, v29, v0
	ds_read2_b64 v[28:31], v22 offset0:64 offset1:96
	v_mul_f32_e32 v4, v3, v7
	v_fma_f32 v4, v2, v6, -v4
	v_mul_f32_e32 v2, v2, v7
	v_fmac_f32_e32 v2, v3, v6
	s_waitcnt lgkmcnt(0)
	v_mul_f32_e32 v3, v28, v25
	v_add_f32_e32 v0, v0, v2
	v_mul_f32_e32 v2, v29, v25
	v_fmac_f32_e32 v3, v29, v24
	v_add_f32_e32 v1, v1, v4
	v_fma_f32 v2, v28, v24, -v2
	v_add_f32_e32 v25, v0, v3
	v_mul_f32_e32 v0, v31, v27
	v_add_f32_e32 v24, v1, v2
	v_fma_f32 v28, v30, v26, -v0
	ds_read2_b64 v[0:3], v22 offset0:128 offset1:160
	ds_read_b128 v[4:7], v14 offset:224
	v_mul_f32_e32 v27, v30, v27
	v_fmac_f32_e32 v27, v31, v26
	v_add_f32_e32 v28, v24, v28
	v_add_f32_e32 v29, v25, v27
	s_waitcnt lgkmcnt(0)
	v_mul_f32_e32 v30, v1, v5
	v_fma_f32 v30, v0, v4, -v30
	v_mul_f32_e32 v0, v0, v5
	v_fmac_f32_e32 v0, v1, v4
	ds_read_b128 v[24:27], v14 offset:240
	v_add_f32_e32 v1, v28, v30
	v_add_f32_e32 v0, v29, v0
	ds_read2_b64 v[28:31], v22 offset0:192 offset1:224
	v_mul_f32_e32 v4, v3, v7
	v_fma_f32 v4, v2, v6, -v4
	v_mul_f32_e32 v2, v2, v7
	v_fmac_f32_e32 v2, v3, v6
	v_add_f32_e32 v0, v0, v2
	s_waitcnt lgkmcnt(0)
	v_mul_f32_e32 v2, v29, v25
	v_mul_f32_e32 v3, v28, v25
	v_add_f32_e32 v1, v1, v4
	v_fma_f32 v2, v28, v24, -v2
	v_fmac_f32_e32 v3, v29, v24
	v_add_f32_e32 v1, v1, v2
	v_add_f32_e32 v2, v0, v3
	v_mul_f32_e32 v3, v30, v27
	v_mul_f32_e32 v0, v31, v27
	v_fmac_f32_e32 v3, v31, v26
	v_fma_f32 v0, v30, v26, -v0
	v_add_f32_e32 v2, v2, v3
	v_add_f32_e32 v0, v1, v0
	v_pk_mul_f32 v[2:3], s[10:11], v[2:3] op_sel_hi:[1,0]
	v_pk_fma_f32 v[4:5], s[10:11], v[0:1], v[2:3] op_sel:[0,0,1] op_sel_hi:[1,1,0] neg_lo:[0,0,1] neg_hi:[0,0,1]
	v_pk_fma_f32 v[0:1], s[10:11], v[0:1], v[2:3] op_sel:[0,0,1] op_sel_hi:[1,0,0]
	v_mov_b32_e32 v5, v1
	s_waitcnt vmcnt(0)
	v_pk_add_f32 v[0:1], v[32:33], v[4:5]
	global_store_dwordx2 v[8:9], v[0:1], off
	s_branch .LBB17_6
.LBB17_13:
	s_endpgm
	.section	.rodata,"a",@progbits
	.p2align	6, 0x0
	.amdhsa_kernel _ZL24rocblas_symm_hemm_kernelILb0ELb1ELi32E19rocblas_complex_numIfEPKS1_PS1_EvbiiT2_T3_lllS6_lllT4_llli
		.amdhsa_group_segment_fixed_size 16384
		.amdhsa_private_segment_fixed_size 0
		.amdhsa_kernarg_size 384
		.amdhsa_user_sgpr_count 6
		.amdhsa_user_sgpr_private_segment_buffer 1
		.amdhsa_user_sgpr_dispatch_ptr 0
		.amdhsa_user_sgpr_queue_ptr 0
		.amdhsa_user_sgpr_kernarg_segment_ptr 1
		.amdhsa_user_sgpr_dispatch_id 0
		.amdhsa_user_sgpr_flat_scratch_init 0
		.amdhsa_user_sgpr_kernarg_preload_length 0
		.amdhsa_user_sgpr_kernarg_preload_offset 0
		.amdhsa_user_sgpr_private_segment_size 0
		.amdhsa_uses_dynamic_stack 0
		.amdhsa_system_sgpr_private_segment_wavefront_offset 0
		.amdhsa_system_sgpr_workgroup_id_x 1
		.amdhsa_system_sgpr_workgroup_id_y 1
		.amdhsa_system_sgpr_workgroup_id_z 1
		.amdhsa_system_sgpr_workgroup_info 0
		.amdhsa_system_vgpr_workitem_id 1
		.amdhsa_next_free_vgpr 40
		.amdhsa_next_free_sgpr 44
		.amdhsa_accum_offset 40
		.amdhsa_reserve_vcc 1
		.amdhsa_reserve_flat_scratch 0
		.amdhsa_float_round_mode_32 0
		.amdhsa_float_round_mode_16_64 0
		.amdhsa_float_denorm_mode_32 3
		.amdhsa_float_denorm_mode_16_64 3
		.amdhsa_dx10_clamp 1
		.amdhsa_ieee_mode 1
		.amdhsa_fp16_overflow 0
		.amdhsa_tg_split 0
		.amdhsa_exception_fp_ieee_invalid_op 0
		.amdhsa_exception_fp_denorm_src 0
		.amdhsa_exception_fp_ieee_div_zero 0
		.amdhsa_exception_fp_ieee_overflow 0
		.amdhsa_exception_fp_ieee_underflow 0
		.amdhsa_exception_fp_ieee_inexact 0
		.amdhsa_exception_int_div_zero 0
	.end_amdhsa_kernel
	.section	.text._ZL24rocblas_symm_hemm_kernelILb0ELb1ELi32E19rocblas_complex_numIfEPKS1_PS1_EvbiiT2_T3_lllS6_lllT4_llli,"axG",@progbits,_ZL24rocblas_symm_hemm_kernelILb0ELb1ELi32E19rocblas_complex_numIfEPKS1_PS1_EvbiiT2_T3_lllS6_lllT4_llli,comdat
.Lfunc_end17:
	.size	_ZL24rocblas_symm_hemm_kernelILb0ELb1ELi32E19rocblas_complex_numIfEPKS1_PS1_EvbiiT2_T3_lllS6_lllT4_llli, .Lfunc_end17-_ZL24rocblas_symm_hemm_kernelILb0ELb1ELi32E19rocblas_complex_numIfEPKS1_PS1_EvbiiT2_T3_lllS6_lllT4_llli
                                        ; -- End function
	.section	.AMDGPU.csdata,"",@progbits
; Kernel info:
; codeLenInByte = 2056
; NumSgprs: 48
; NumVgprs: 40
; NumAgprs: 0
; TotalNumVgprs: 40
; ScratchSize: 0
; MemoryBound: 0
; FloatMode: 240
; IeeeMode: 1
; LDSByteSize: 16384 bytes/workgroup (compile time only)
; SGPRBlocks: 5
; VGPRBlocks: 4
; NumSGPRsForWavesPerEU: 48
; NumVGPRsForWavesPerEU: 40
; AccumOffset: 40
; Occupancy: 8
; WaveLimiterHint : 0
; COMPUTE_PGM_RSRC2:SCRATCH_EN: 0
; COMPUTE_PGM_RSRC2:USER_SGPR: 6
; COMPUTE_PGM_RSRC2:TRAP_HANDLER: 0
; COMPUTE_PGM_RSRC2:TGID_X_EN: 1
; COMPUTE_PGM_RSRC2:TGID_Y_EN: 1
; COMPUTE_PGM_RSRC2:TGID_Z_EN: 1
; COMPUTE_PGM_RSRC2:TIDIG_COMP_CNT: 1
; COMPUTE_PGM_RSRC3_GFX90A:ACCUM_OFFSET: 9
; COMPUTE_PGM_RSRC3_GFX90A:TG_SPLIT: 0
	.section	.text._ZL25rocblas_symm_scale_kernelILi128ELi8EPK19rocblas_complex_numIdEPS1_EviiT1_T2_llli,"axG",@progbits,_ZL25rocblas_symm_scale_kernelILi128ELi8EPK19rocblas_complex_numIdEPS1_EviiT1_T2_llli,comdat
	.globl	_ZL25rocblas_symm_scale_kernelILi128ELi8EPK19rocblas_complex_numIdEPS1_EviiT1_T2_llli ; -- Begin function _ZL25rocblas_symm_scale_kernelILi128ELi8EPK19rocblas_complex_numIdEPS1_EviiT1_T2_llli
	.p2align	8
	.type	_ZL25rocblas_symm_scale_kernelILi128ELi8EPK19rocblas_complex_numIdEPS1_EviiT1_T2_llli,@function
_ZL25rocblas_symm_scale_kernelILi128ELi8EPK19rocblas_complex_numIdEPS1_EviiT1_T2_llli: ; @_ZL25rocblas_symm_scale_kernelILi128ELi8EPK19rocblas_complex_numIdEPS1_EviiT1_T2_llli
; %bb.0:
	s_load_dwordx8 s[12:19], s[4:5], 0x8
	s_waitcnt lgkmcnt(0)
	s_load_dwordx4 s[20:23], s[12:13], 0x0
	s_waitcnt lgkmcnt(0)
	v_cmp_eq_f64_e64 s[0:1], s[20:21], 1.0
	v_cmp_eq_f64_e64 s[2:3], s[22:23], 0
	s_and_b64 s[0:1], s[0:1], s[2:3]
	s_and_b64 vcc, exec, s[0:1]
	s_cbranch_vccnz .LBB18_6
; %bb.1:
	s_load_dwordx2 s[0:1], s[4:5], 0x0
	v_and_b32_e32 v1, 0x3ff, v0
	v_bfe_u32 v0, v0, 10, 10
	v_lshl_add_u32 v2, s6, 7, v1
	v_lshl_add_u32 v4, s7, 3, v0
	v_mov_b32_e32 v5, 0
	s_waitcnt lgkmcnt(0)
	s_ashr_i32 s3, s1, 31
	s_mov_b32 s2, s1
	v_cmp_gt_u32_e32 vcc, s0, v2
	v_cmp_gt_i64_e64 s[0:1], s[2:3], v[4:5]
	s_and_b64 s[0:1], vcc, s[0:1]
	s_and_saveexec_b64 s[6:7], s[0:1]
	s_cbranch_execz .LBB18_6
; %bb.2:
	s_load_dwordx2 s[10:11], s[4:5], 0x28
	s_load_dword s9, s[4:5], 0x3c
	v_cmp_neq_f64_e64 s[0:1], s[20:21], 0
	v_cmp_neq_f64_e64 s[4:5], s[22:23], 0
	s_or_b64 s[0:1], s[0:1], s[4:5]
	s_waitcnt lgkmcnt(0)
	s_mul_i32 s4, s11, s8
	s_mul_hi_u32 s5, s10, s8
	s_add_i32 s5, s5, s4
	s_mul_i32 s4, s10, s8
	v_mad_u64_u32 v[0:1], s[10:11], s18, v4, 0
	v_mov_b32_e32 v6, v1
	v_mad_u64_u32 v[6:7], s[10:11], s19, v4, v[6:7]
	s_lshl_b32 s9, s9, 3
	s_lshl_b64 s[4:5], s[4:5], 4
	s_lshl_b64 s[10:11], s[16:17], 4
	v_mov_b32_e32 v1, v6
	s_add_u32 s4, s10, s4
	v_lshlrev_b64 v[0:1], 4, v[0:1]
	s_addc_u32 s5, s11, s5
	v_mov_b32_e32 v3, v5
	v_mov_b32_e32 v6, s5
	v_add_co_u32_e32 v7, vcc, s4, v0
	v_addc_co_u32_e32 v6, vcc, v6, v1, vcc
	v_lshlrev_b64 v[0:1], 4, v[2:3]
	v_add_co_u32_e32 v0, vcc, v7, v0
	v_addc_co_u32_e32 v1, vcc, v6, v1, vcc
	v_mov_b32_e32 v2, s15
	v_add_co_u32_e32 v0, vcc, s14, v0
	s_mul_i32 s4, s19, s9
	s_mul_hi_u32 s5, s18, s9
	v_addc_co_u32_e32 v1, vcc, v1, v2, vcc
	s_add_i32 s5, s5, s4
	s_mul_i32 s4, s18, s9
	s_mov_b32 s12, 0
	v_add_co_u32_e32 v6, vcc, 8, v0
	s_lshl_b64 s[4:5], s[4:5], 4
	v_cndmask_b32_e64 v0, 0, 1, s[0:1]
	s_mov_b64 s[6:7], 0
	v_addc_co_u32_e32 v7, vcc, 0, v1, vcc
	v_cmp_ne_u32_e64 s[0:1], 1, v0
	v_mov_b32_e32 v8, s12
	v_mov_b32_e32 v9, s5
	s_branch .LBB18_4
.LBB18_3:                               ;   in Loop: Header=BB18_4 Depth=1
	v_add_co_u32_e32 v4, vcc, s9, v4
	v_addc_co_u32_e32 v5, vcc, v5, v8, vcc
	v_cmp_le_i64_e32 vcc, s[2:3], v[4:5]
	global_store_dwordx4 v[6:7], v[0:3], off offset:-8
	s_or_b64 s[6:7], vcc, s[6:7]
	v_add_co_u32_e32 v6, vcc, s4, v6
	v_addc_co_u32_e32 v7, vcc, v7, v9, vcc
	s_andn2_b64 exec, exec, s[6:7]
	s_cbranch_execz .LBB18_6
.LBB18_4:                               ; =>This Inner Loop Header: Depth=1
	v_pk_mov_b32 v[2:3], 0, 0
	s_and_b64 vcc, exec, s[0:1]
	v_pk_mov_b32 v[0:1], v[2:3], v[2:3] op_sel:[0,1]
	s_cbranch_vccnz .LBB18_3
; %bb.5:                                ;   in Loop: Header=BB18_4 Depth=1
	global_load_dwordx4 v[10:13], v[6:7], off offset:-8
	s_waitcnt vmcnt(0)
	v_mul_f64 v[0:1], s[22:23], v[12:13]
	v_mul_f64 v[2:3], s[20:21], v[12:13]
	v_fma_f64 v[0:1], s[20:21], v[10:11], -v[0:1]
	v_fmac_f64_e32 v[2:3], s[22:23], v[10:11]
	s_branch .LBB18_3
.LBB18_6:
	s_endpgm
	.section	.rodata,"a",@progbits
	.p2align	6, 0x0
	.amdhsa_kernel _ZL25rocblas_symm_scale_kernelILi128ELi8EPK19rocblas_complex_numIdEPS1_EviiT1_T2_llli
		.amdhsa_group_segment_fixed_size 0
		.amdhsa_private_segment_fixed_size 0
		.amdhsa_kernarg_size 312
		.amdhsa_user_sgpr_count 6
		.amdhsa_user_sgpr_private_segment_buffer 1
		.amdhsa_user_sgpr_dispatch_ptr 0
		.amdhsa_user_sgpr_queue_ptr 0
		.amdhsa_user_sgpr_kernarg_segment_ptr 1
		.amdhsa_user_sgpr_dispatch_id 0
		.amdhsa_user_sgpr_flat_scratch_init 0
		.amdhsa_user_sgpr_kernarg_preload_length 0
		.amdhsa_user_sgpr_kernarg_preload_offset 0
		.amdhsa_user_sgpr_private_segment_size 0
		.amdhsa_uses_dynamic_stack 0
		.amdhsa_system_sgpr_private_segment_wavefront_offset 0
		.amdhsa_system_sgpr_workgroup_id_x 1
		.amdhsa_system_sgpr_workgroup_id_y 1
		.amdhsa_system_sgpr_workgroup_id_z 1
		.amdhsa_system_sgpr_workgroup_info 0
		.amdhsa_system_vgpr_workitem_id 1
		.amdhsa_next_free_vgpr 14
		.amdhsa_next_free_sgpr 24
		.amdhsa_accum_offset 16
		.amdhsa_reserve_vcc 1
		.amdhsa_reserve_flat_scratch 0
		.amdhsa_float_round_mode_32 0
		.amdhsa_float_round_mode_16_64 0
		.amdhsa_float_denorm_mode_32 3
		.amdhsa_float_denorm_mode_16_64 3
		.amdhsa_dx10_clamp 1
		.amdhsa_ieee_mode 1
		.amdhsa_fp16_overflow 0
		.amdhsa_tg_split 0
		.amdhsa_exception_fp_ieee_invalid_op 0
		.amdhsa_exception_fp_denorm_src 0
		.amdhsa_exception_fp_ieee_div_zero 0
		.amdhsa_exception_fp_ieee_overflow 0
		.amdhsa_exception_fp_ieee_underflow 0
		.amdhsa_exception_fp_ieee_inexact 0
		.amdhsa_exception_int_div_zero 0
	.end_amdhsa_kernel
	.section	.text._ZL25rocblas_symm_scale_kernelILi128ELi8EPK19rocblas_complex_numIdEPS1_EviiT1_T2_llli,"axG",@progbits,_ZL25rocblas_symm_scale_kernelILi128ELi8EPK19rocblas_complex_numIdEPS1_EviiT1_T2_llli,comdat
.Lfunc_end18:
	.size	_ZL25rocblas_symm_scale_kernelILi128ELi8EPK19rocblas_complex_numIdEPS1_EviiT1_T2_llli, .Lfunc_end18-_ZL25rocblas_symm_scale_kernelILi128ELi8EPK19rocblas_complex_numIdEPS1_EviiT1_T2_llli
                                        ; -- End function
	.section	.AMDGPU.csdata,"",@progbits
; Kernel info:
; codeLenInByte = 460
; NumSgprs: 28
; NumVgprs: 14
; NumAgprs: 0
; TotalNumVgprs: 14
; ScratchSize: 0
; MemoryBound: 0
; FloatMode: 240
; IeeeMode: 1
; LDSByteSize: 0 bytes/workgroup (compile time only)
; SGPRBlocks: 3
; VGPRBlocks: 1
; NumSGPRsForWavesPerEU: 28
; NumVGPRsForWavesPerEU: 14
; AccumOffset: 16
; Occupancy: 8
; WaveLimiterHint : 0
; COMPUTE_PGM_RSRC2:SCRATCH_EN: 0
; COMPUTE_PGM_RSRC2:USER_SGPR: 6
; COMPUTE_PGM_RSRC2:TRAP_HANDLER: 0
; COMPUTE_PGM_RSRC2:TGID_X_EN: 1
; COMPUTE_PGM_RSRC2:TGID_Y_EN: 1
; COMPUTE_PGM_RSRC2:TGID_Z_EN: 1
; COMPUTE_PGM_RSRC2:TIDIG_COMP_CNT: 1
; COMPUTE_PGM_RSRC3_GFX90A:ACCUM_OFFSET: 3
; COMPUTE_PGM_RSRC3_GFX90A:TG_SPLIT: 0
	.section	.text._ZL24rocblas_symm_hemm_kernelILb0ELb0ELi32EPK19rocblas_complex_numIdES3_PS1_EvbiiT2_T3_lllS6_lllT4_llli,"axG",@progbits,_ZL24rocblas_symm_hemm_kernelILb0ELb0ELi32EPK19rocblas_complex_numIdES3_PS1_EvbiiT2_T3_lllS6_lllT4_llli,comdat
	.globl	_ZL24rocblas_symm_hemm_kernelILb0ELb0ELi32EPK19rocblas_complex_numIdES3_PS1_EvbiiT2_T3_lllS6_lllT4_llli ; -- Begin function _ZL24rocblas_symm_hemm_kernelILb0ELb0ELi32EPK19rocblas_complex_numIdES3_PS1_EvbiiT2_T3_lllS6_lllT4_llli
	.p2align	8
	.type	_ZL24rocblas_symm_hemm_kernelILb0ELb0ELi32EPK19rocblas_complex_numIdES3_PS1_EvbiiT2_T3_lllS6_lllT4_llli,@function
_ZL24rocblas_symm_hemm_kernelILb0ELb0ELi32EPK19rocblas_complex_numIdES3_PS1_EvbiiT2_T3_lllS6_lllT4_llli: ; @_ZL24rocblas_symm_hemm_kernelILb0ELb0ELi32EPK19rocblas_complex_numIdES3_PS1_EvbiiT2_T3_lllS6_lllT4_llli
; %bb.0:
	s_load_dwordx16 s[12:27], s[4:5], 0x10
	s_waitcnt lgkmcnt(0)
	s_load_dwordx4 s[28:31], s[12:13], 0x0
	s_waitcnt lgkmcnt(0)
	v_cmp_eq_f64_e64 s[0:1], s[28:29], 0
	v_cmp_eq_f64_e64 s[2:3], s[30:31], 0
	s_and_b64 s[0:1], s[0:1], s[2:3]
	s_and_b64 vcc, exec, s[0:1]
	s_cbranch_vccnz .LBB19_13
; %bb.1:
	s_load_dwordx4 s[44:47], s[4:5], 0x0
	s_waitcnt lgkmcnt(0)
	s_add_i32 s0, s46, -1
	s_ashr_i32 s1, s0, 31
	s_lshr_b32 s1, s1, 27
	s_add_i32 s0, s0, s1
	s_ashr_i32 s33, s0, 5
	s_cmp_gt_i32 s7, s33
	s_cbranch_scc1 .LBB19_13
; %bb.2:
	s_mul_i32 s0, s8, s21
	s_mul_hi_u32 s1, s8, s20
	s_load_dwordx8 s[36:43], s[4:5], 0x50
	s_add_i32 s1, s1, s0
	s_mul_i32 s0, s8, s20
	s_lshl_b64 s[0:1], s[0:1], 4
	s_add_u32 s2, s14, s0
	s_addc_u32 s3, s15, s1
	s_lshl_b64 s[0:1], s[16:17], 4
	s_add_u32 s14, s2, s0
	s_addc_u32 s15, s3, s1
	s_waitcnt lgkmcnt(0)
	s_mul_i32 s0, s8, s37
	s_mul_hi_u32 s1, s8, s36
	s_add_i32 s1, s1, s0
	s_mul_i32 s0, s8, s36
	s_lshl_b64 s[0:1], s[0:1], 4
	s_add_u32 s2, s22, s0
	s_addc_u32 s9, s23, s1
	s_lshl_b64 s[0:1], s[24:25], 4
	s_add_u32 s16, s2, s0
	s_load_dwordx2 s[2:3], s[4:5], 0x70
	s_load_dword s20, s[4:5], 0x84
	s_addc_u32 s17, s9, s1
	s_bitcmp1_b32 s44, 0
	s_cselect_b64 s[0:1], -1, 0
	s_waitcnt lgkmcnt(0)
	s_mul_i32 s3, s8, s3
	s_mul_hi_u32 s4, s8, s2
	s_add_i32 s3, s4, s3
	s_mul_i32 s2, s8, s2
	s_lshl_b64 s[2:3], s[2:3], 4
	s_add_u32 s4, s38, s2
	s_addc_u32 s5, s39, s3
	s_lshl_b64 s[2:3], s[40:41], 4
	v_and_b32_e32 v26, 0x3ff, v0
	s_add_u32 s4, s4, s2
	v_lshl_add_u32 v16, s6, 5, v26
	v_bfe_u32 v27, v0, 10, 10
	s_addc_u32 s5, s5, s3
	v_lshlrev_b32_e32 v0, 4, v27
	v_lshlrev_b32_e32 v28, 9, v26
	v_ashrrev_i32_e32 v17, 31, v16
	s_cmp_gt_i32 s45, 0
	v_add_u32_e32 v29, v28, v0
	v_or_b32_e32 v30, 0x4000, v0
	v_lshlrev_b64 v[0:1], 4, v[16:17]
	v_mov_b32_e32 v2, s5
	v_add_co_u32_e32 v17, vcc, s4, v0
	s_cselect_b64 s[4:5], -1, 0
	v_cndmask_b32_e64 v0, 0, 1, s[4:5]
	v_add_u32_e32 v31, v30, v28
	v_cmp_gt_i32_e64 s[2:3], s45, v16
	v_addc_co_u32_e32 v32, vcc, v2, v1, vcc
	v_cmp_ne_u32_e64 s[4:5], 1, v0
	s_branch .LBB19_4
.LBB19_3:                               ;   in Loop: Header=BB19_4 Depth=1
	s_add_i32 s7, s7, s20
	s_cmp_gt_i32 s7, s33
	s_cbranch_scc1 .LBB19_13
.LBB19_4:                               ; =>This Loop Header: Depth=1
                                        ;     Child Loop BB19_7 Depth 2
	s_and_b64 vcc, exec, s[4:5]
	s_cbranch_vccnz .LBB19_3
; %bb.5:                                ;   in Loop: Header=BB19_4 Depth=1
	v_lshl_add_u32 v2, s7, 5, v27
	v_ashrrev_i32_e32 v3, 31, v2
	v_mul_lo_u32 v4, v3, s26
	v_mul_lo_u32 v5, v2, s27
	v_mad_u64_u32 v[0:1], s[8:9], v2, s26, 0
	v_add3_u32 v1, v1, v5, v4
	v_lshlrev_b64 v[0:1], 4, v[0:1]
	v_mov_b32_e32 v4, s17
	v_add_co_u32_e64 v33, s[8:9], s16, v0
	v_addc_co_u32_e64 v34, s[8:9], v4, v1, s[8:9]
	v_mul_lo_u32 v3, v3, s42
	v_mul_lo_u32 v4, v2, s43
	v_mad_u64_u32 v[0:1], s[8:9], v2, s42, 0
	v_add3_u32 v1, v1, v4, v3
	v_lshlrev_b64 v[0:1], 4, v[0:1]
	v_cmp_gt_i32_e32 vcc, s46, v2
	v_add_co_u32_e64 v18, s[8:9], v17, v0
	s_and_b64 s[10:11], s[2:3], vcc
	v_addc_co_u32_e64 v19, s[8:9], v32, v1, s[8:9]
	s_mov_b32 s6, 0
	s_branch .LBB19_7
.LBB19_6:                               ;   in Loop: Header=BB19_7 Depth=2
	s_or_b64 exec, exec, s[8:9]
	s_add_i32 s6, s6, 32
	s_cmp_ge_i32 s6, s45
	s_barrier
	s_cbranch_scc1 .LBB19_3
.LBB19_7:                               ;   Parent Loop BB19_4 Depth=1
                                        ; =>  This Inner Loop Header: Depth=2
	v_add_u32_e32 v0, s6, v27
	v_cndmask_b32_e64 v1, v0, v16, s[0:1]
	v_cndmask_b32_e64 v2, v16, v0, s[0:1]
	v_cmp_gt_i32_e64 s[8:9], v1, v2
	v_cndmask_b32_e64 v6, v16, v0, s[8:9]
	v_cndmask_b32_e64 v7, v0, v16, s[8:9]
	v_max_i32_e32 v0, v6, v7
	v_cmp_gt_i32_e64 s[8:9], s45, v0
	v_pk_mov_b32 v[0:1], 0, 0
	v_pk_mov_b32 v[2:3], v[0:1], v[0:1] op_sel:[0,1]
	v_pk_mov_b32 v[4:5], v[0:1], v[0:1] op_sel:[0,1]
	s_and_saveexec_b64 s[12:13], s[8:9]
	s_cbranch_execz .LBB19_9
; %bb.8:                                ;   in Loop: Header=BB19_7 Depth=2
	v_ashrrev_i32_e32 v2, 31, v7
	v_mul_lo_u32 v4, v7, s19
	v_mul_lo_u32 v5, v2, s18
	v_mad_u64_u32 v[2:3], s[8:9], v7, s18, 0
	v_add3_u32 v3, v3, v4, v5
	v_lshlrev_b64 v[2:3], 4, v[2:3]
	v_ashrrev_i32_e32 v7, 31, v6
	v_mov_b32_e32 v4, s15
	v_add_co_u32_e64 v5, s[8:9], s14, v2
	v_addc_co_u32_e64 v4, s[8:9], v4, v3, s[8:9]
	v_lshlrev_b64 v[2:3], 4, v[6:7]
	v_add_co_u32_e64 v2, s[8:9], v5, v2
	v_addc_co_u32_e64 v3, s[8:9], v4, v3, s[8:9]
	global_load_dwordx4 v[2:5], v[2:3], off
.LBB19_9:                               ;   in Loop: Header=BB19_7 Depth=2
	s_or_b64 exec, exec, s[12:13]
	s_waitcnt vmcnt(0)
	ds_write_b128 v29, v[2:5]
	v_add_u32_e32 v4, s6, v26
	v_cmp_gt_i32_e64 s[8:9], s45, v4
	s_and_b64 s[8:9], s[8:9], vcc
	v_pk_mov_b32 v[2:3], v[0:1], v[0:1] op_sel:[0,1]
	s_and_saveexec_b64 s[12:13], s[8:9]
	s_cbranch_execz .LBB19_11
; %bb.10:                               ;   in Loop: Header=BB19_7 Depth=2
	v_ashrrev_i32_e32 v5, 31, v4
	v_lshlrev_b64 v[0:1], 4, v[4:5]
	v_add_co_u32_e64 v0, s[8:9], v33, v0
	v_addc_co_u32_e64 v1, s[8:9], v34, v1, s[8:9]
	global_load_dwordx4 v[0:3], v[0:1], off
.LBB19_11:                              ;   in Loop: Header=BB19_7 Depth=2
	s_or_b64 exec, exec, s[12:13]
	s_waitcnt vmcnt(0)
	ds_write_b128 v31, v[0:3]
	s_waitcnt lgkmcnt(0)
	s_barrier
	s_and_saveexec_b64 s[8:9], s[10:11]
	s_cbranch_execz .LBB19_6
; %bb.12:                               ;   in Loop: Header=BB19_7 Depth=2
	ds_read_b128 v[0:3], v30
	ds_read_b128 v[4:7], v28
	ds_read_b128 v[8:11], v28 offset:16
	ds_read_b128 v[12:15], v28 offset:32
	;; [unrolled: 1-line block ×4, first 2 shown]
	s_waitcnt lgkmcnt(4)
	v_mul_f64 v[24:25], v[2:3], v[6:7]
	v_fma_f64 v[24:25], v[0:1], v[4:5], -v[24:25]
	v_mul_f64 v[0:1], v[0:1], v[6:7]
	v_fmac_f64_e32 v[0:1], v[2:3], v[4:5]
	v_add_f64 v[6:7], v[0:1], 0
	s_waitcnt lgkmcnt(0)
	v_mul_f64 v[0:1], v[38:39], v[10:11]
	v_add_f64 v[4:5], v[24:25], 0
	v_fma_f64 v[24:25], v[36:37], v[8:9], -v[0:1]
	ds_read_b128 v[0:3], v30 offset:1024
	v_mul_f64 v[10:11], v[36:37], v[10:11]
	v_fmac_f64_e32 v[10:11], v[38:39], v[8:9]
	v_add_f64 v[8:9], v[4:5], v[24:25]
	v_add_f64 v[10:11], v[6:7], v[10:11]
	ds_read_b128 v[4:7], v30 offset:1536
	s_waitcnt lgkmcnt(1)
	v_mul_f64 v[24:25], v[2:3], v[14:15]
	v_fma_f64 v[24:25], v[0:1], v[12:13], -v[24:25]
	v_mul_f64 v[0:1], v[0:1], v[14:15]
	v_fmac_f64_e32 v[0:1], v[2:3], v[12:13]
	v_add_f64 v[10:11], v[10:11], v[0:1]
	s_waitcnt lgkmcnt(0)
	v_mul_f64 v[0:1], v[6:7], v[22:23]
	v_mul_f64 v[14:15], v[4:5], v[22:23]
	v_add_f64 v[8:9], v[8:9], v[24:25]
	v_fma_f64 v[12:13], v[4:5], v[20:21], -v[0:1]
	v_fmac_f64_e32 v[14:15], v[6:7], v[20:21]
	ds_read_b128 v[0:3], v28 offset:64
	ds_read_b128 v[4:7], v30 offset:2048
	v_add_f64 v[20:21], v[8:9], v[12:13]
	v_add_f64 v[22:23], v[10:11], v[14:15]
	ds_read_b128 v[8:11], v30 offset:2560
	ds_read_b128 v[12:15], v28 offset:80
	s_waitcnt lgkmcnt(2)
	v_mul_f64 v[24:25], v[6:7], v[2:3]
	v_mul_f64 v[2:3], v[4:5], v[2:3]
	v_fma_f64 v[24:25], v[4:5], v[0:1], -v[24:25]
	v_fmac_f64_e32 v[2:3], v[6:7], v[0:1]
	s_waitcnt lgkmcnt(0)
	v_mul_f64 v[0:1], v[10:11], v[14:15]
	v_add_f64 v[20:21], v[20:21], v[24:25]
	v_fma_f64 v[24:25], v[8:9], v[12:13], -v[0:1]
	v_mul_f64 v[8:9], v[8:9], v[14:15]
	v_add_f64 v[22:23], v[22:23], v[2:3]
	v_fmac_f64_e32 v[8:9], v[10:11], v[12:13]
	ds_read_b128 v[0:3], v28 offset:96
	ds_read_b128 v[4:7], v30 offset:3072
	v_add_f64 v[22:23], v[22:23], v[8:9]
	ds_read_b128 v[8:11], v30 offset:3584
	ds_read_b128 v[12:15], v28 offset:112
	v_add_f64 v[20:21], v[20:21], v[24:25]
	s_waitcnt lgkmcnt(2)
	v_mul_f64 v[24:25], v[6:7], v[2:3]
	v_mul_f64 v[2:3], v[4:5], v[2:3]
	v_fma_f64 v[24:25], v[4:5], v[0:1], -v[24:25]
	v_fmac_f64_e32 v[2:3], v[6:7], v[0:1]
	s_waitcnt lgkmcnt(0)
	v_mul_f64 v[0:1], v[10:11], v[14:15]
	v_add_f64 v[20:21], v[20:21], v[24:25]
	v_fma_f64 v[24:25], v[8:9], v[12:13], -v[0:1]
	v_mul_f64 v[8:9], v[8:9], v[14:15]
	v_add_f64 v[22:23], v[22:23], v[2:3]
	v_fmac_f64_e32 v[8:9], v[10:11], v[12:13]
	ds_read_b128 v[0:3], v28 offset:128
	ds_read_b128 v[4:7], v30 offset:4096
	v_add_f64 v[22:23], v[22:23], v[8:9]
	ds_read_b128 v[8:11], v30 offset:4608
	ds_read_b128 v[12:15], v28 offset:144
	v_add_f64 v[20:21], v[20:21], v[24:25]
	;; [unrolled: 18-line block ×8, first 2 shown]
	s_waitcnt lgkmcnt(2)
	v_mul_f64 v[24:25], v[6:7], v[2:3]
	v_mul_f64 v[2:3], v[4:5], v[2:3]
	v_fma_f64 v[24:25], v[4:5], v[0:1], -v[24:25]
	v_fmac_f64_e32 v[2:3], v[6:7], v[0:1]
	s_waitcnt lgkmcnt(0)
	v_mul_f64 v[0:1], v[10:11], v[14:15]
	v_add_f64 v[20:21], v[20:21], v[24:25]
	v_fma_f64 v[24:25], v[8:9], v[12:13], -v[0:1]
	v_mul_f64 v[8:9], v[8:9], v[14:15]
	v_add_f64 v[22:23], v[22:23], v[2:3]
	v_fmac_f64_e32 v[8:9], v[10:11], v[12:13]
	ds_read_b128 v[0:3], v28 offset:352
	ds_read_b128 v[4:7], v30 offset:11264
	v_add_f64 v[22:23], v[22:23], v[8:9]
	ds_read_b128 v[8:11], v30 offset:11776
	ds_read_b128 v[12:15], v28 offset:368
	global_load_dwordx4 v[36:39], v[18:19], off
	v_add_f64 v[20:21], v[20:21], v[24:25]
	s_waitcnt lgkmcnt(2)
	v_mul_f64 v[24:25], v[6:7], v[2:3]
	v_mul_f64 v[2:3], v[4:5], v[2:3]
	v_fma_f64 v[24:25], v[4:5], v[0:1], -v[24:25]
	v_fmac_f64_e32 v[2:3], v[6:7], v[0:1]
	s_waitcnt lgkmcnt(0)
	v_mul_f64 v[0:1], v[10:11], v[14:15]
	v_add_f64 v[20:21], v[20:21], v[24:25]
	v_fma_f64 v[24:25], v[8:9], v[12:13], -v[0:1]
	v_mul_f64 v[8:9], v[8:9], v[14:15]
	v_add_f64 v[22:23], v[22:23], v[2:3]
	v_fmac_f64_e32 v[8:9], v[10:11], v[12:13]
	ds_read_b128 v[0:3], v28 offset:384
	ds_read_b128 v[4:7], v30 offset:12288
	v_add_f64 v[22:23], v[22:23], v[8:9]
	ds_read_b128 v[8:11], v30 offset:12800
	ds_read_b128 v[12:15], v28 offset:400
	v_add_f64 v[20:21], v[20:21], v[24:25]
	s_waitcnt lgkmcnt(2)
	v_mul_f64 v[24:25], v[6:7], v[2:3]
	v_mul_f64 v[2:3], v[4:5], v[2:3]
	v_fma_f64 v[24:25], v[4:5], v[0:1], -v[24:25]
	v_fmac_f64_e32 v[2:3], v[6:7], v[0:1]
	s_waitcnt lgkmcnt(0)
	v_mul_f64 v[0:1], v[10:11], v[14:15]
	v_add_f64 v[20:21], v[20:21], v[24:25]
	v_fma_f64 v[24:25], v[8:9], v[12:13], -v[0:1]
	v_mul_f64 v[8:9], v[8:9], v[14:15]
	v_add_f64 v[22:23], v[22:23], v[2:3]
	v_fmac_f64_e32 v[8:9], v[10:11], v[12:13]
	ds_read_b128 v[0:3], v28 offset:416
	ds_read_b128 v[4:7], v30 offset:13312
	v_add_f64 v[22:23], v[22:23], v[8:9]
	ds_read_b128 v[8:11], v30 offset:13824
	ds_read_b128 v[12:15], v28 offset:432
	;; [unrolled: 18-line block ×4, first 2 shown]
	v_add_f64 v[20:21], v[20:21], v[24:25]
	s_waitcnt lgkmcnt(2)
	v_mul_f64 v[24:25], v[6:7], v[2:3]
	v_mul_f64 v[2:3], v[4:5], v[2:3]
	v_fma_f64 v[24:25], v[4:5], v[0:1], -v[24:25]
	v_fmac_f64_e32 v[2:3], v[6:7], v[0:1]
	s_waitcnt lgkmcnt(0)
	v_mul_f64 v[4:5], v[10:11], v[14:15]
	v_mul_f64 v[6:7], v[8:9], v[14:15]
	v_add_f64 v[0:1], v[20:21], v[24:25]
	v_add_f64 v[2:3], v[22:23], v[2:3]
	v_fma_f64 v[4:5], v[8:9], v[12:13], -v[4:5]
	v_fmac_f64_e32 v[6:7], v[10:11], v[12:13]
	v_add_f64 v[0:1], v[0:1], v[4:5]
	v_add_f64 v[2:3], v[2:3], v[6:7]
	v_mul_f64 v[4:5], s[30:31], v[2:3]
	v_mul_f64 v[6:7], s[30:31], v[0:1]
	v_fma_f64 v[4:5], s[28:29], v[0:1], -v[4:5]
	v_fmac_f64_e32 v[6:7], s[28:29], v[2:3]
	s_waitcnt vmcnt(0)
	v_add_f64 v[0:1], v[36:37], v[4:5]
	v_add_f64 v[2:3], v[38:39], v[6:7]
	global_store_dwordx4 v[18:19], v[0:3], off
	s_branch .LBB19_6
.LBB19_13:
	s_endpgm
	.section	.rodata,"a",@progbits
	.p2align	6, 0x0
	.amdhsa_kernel _ZL24rocblas_symm_hemm_kernelILb0ELb0ELi32EPK19rocblas_complex_numIdES3_PS1_EvbiiT2_T3_lllS6_lllT4_llli
		.amdhsa_group_segment_fixed_size 32768
		.amdhsa_private_segment_fixed_size 0
		.amdhsa_kernarg_size 384
		.amdhsa_user_sgpr_count 6
		.amdhsa_user_sgpr_private_segment_buffer 1
		.amdhsa_user_sgpr_dispatch_ptr 0
		.amdhsa_user_sgpr_queue_ptr 0
		.amdhsa_user_sgpr_kernarg_segment_ptr 1
		.amdhsa_user_sgpr_dispatch_id 0
		.amdhsa_user_sgpr_flat_scratch_init 0
		.amdhsa_user_sgpr_kernarg_preload_length 0
		.amdhsa_user_sgpr_kernarg_preload_offset 0
		.amdhsa_user_sgpr_private_segment_size 0
		.amdhsa_uses_dynamic_stack 0
		.amdhsa_system_sgpr_private_segment_wavefront_offset 0
		.amdhsa_system_sgpr_workgroup_id_x 1
		.amdhsa_system_sgpr_workgroup_id_y 1
		.amdhsa_system_sgpr_workgroup_id_z 1
		.amdhsa_system_sgpr_workgroup_info 0
		.amdhsa_system_vgpr_workitem_id 1
		.amdhsa_next_free_vgpr 40
		.amdhsa_next_free_sgpr 48
		.amdhsa_accum_offset 40
		.amdhsa_reserve_vcc 1
		.amdhsa_reserve_flat_scratch 0
		.amdhsa_float_round_mode_32 0
		.amdhsa_float_round_mode_16_64 0
		.amdhsa_float_denorm_mode_32 3
		.amdhsa_float_denorm_mode_16_64 3
		.amdhsa_dx10_clamp 1
		.amdhsa_ieee_mode 1
		.amdhsa_fp16_overflow 0
		.amdhsa_tg_split 0
		.amdhsa_exception_fp_ieee_invalid_op 0
		.amdhsa_exception_fp_denorm_src 0
		.amdhsa_exception_fp_ieee_div_zero 0
		.amdhsa_exception_fp_ieee_overflow 0
		.amdhsa_exception_fp_ieee_underflow 0
		.amdhsa_exception_fp_ieee_inexact 0
		.amdhsa_exception_int_div_zero 0
	.end_amdhsa_kernel
	.section	.text._ZL24rocblas_symm_hemm_kernelILb0ELb0ELi32EPK19rocblas_complex_numIdES3_PS1_EvbiiT2_T3_lllS6_lllT4_llli,"axG",@progbits,_ZL24rocblas_symm_hemm_kernelILb0ELb0ELi32EPK19rocblas_complex_numIdES3_PS1_EvbiiT2_T3_lllS6_lllT4_llli,comdat
.Lfunc_end19:
	.size	_ZL24rocblas_symm_hemm_kernelILb0ELb0ELi32EPK19rocblas_complex_numIdES3_PS1_EvbiiT2_T3_lllS6_lllT4_llli, .Lfunc_end19-_ZL24rocblas_symm_hemm_kernelILb0ELb0ELi32EPK19rocblas_complex_numIdES3_PS1_EvbiiT2_T3_lllS6_lllT4_llli
                                        ; -- End function
	.section	.AMDGPU.csdata,"",@progbits
; Kernel info:
; codeLenInByte = 2968
; NumSgprs: 52
; NumVgprs: 40
; NumAgprs: 0
; TotalNumVgprs: 40
; ScratchSize: 0
; MemoryBound: 1
; FloatMode: 240
; IeeeMode: 1
; LDSByteSize: 32768 bytes/workgroup (compile time only)
; SGPRBlocks: 6
; VGPRBlocks: 4
; NumSGPRsForWavesPerEU: 52
; NumVGPRsForWavesPerEU: 40
; AccumOffset: 40
; Occupancy: 8
; WaveLimiterHint : 0
; COMPUTE_PGM_RSRC2:SCRATCH_EN: 0
; COMPUTE_PGM_RSRC2:USER_SGPR: 6
; COMPUTE_PGM_RSRC2:TRAP_HANDLER: 0
; COMPUTE_PGM_RSRC2:TGID_X_EN: 1
; COMPUTE_PGM_RSRC2:TGID_Y_EN: 1
; COMPUTE_PGM_RSRC2:TGID_Z_EN: 1
; COMPUTE_PGM_RSRC2:TIDIG_COMP_CNT: 1
; COMPUTE_PGM_RSRC3_GFX90A:ACCUM_OFFSET: 9
; COMPUTE_PGM_RSRC3_GFX90A:TG_SPLIT: 0
	.section	.text._ZL24rocblas_symm_hemm_kernelILb0ELb1ELi32EPK19rocblas_complex_numIdES3_PS1_EvbiiT2_T3_lllS6_lllT4_llli,"axG",@progbits,_ZL24rocblas_symm_hemm_kernelILb0ELb1ELi32EPK19rocblas_complex_numIdES3_PS1_EvbiiT2_T3_lllS6_lllT4_llli,comdat
	.globl	_ZL24rocblas_symm_hemm_kernelILb0ELb1ELi32EPK19rocblas_complex_numIdES3_PS1_EvbiiT2_T3_lllS6_lllT4_llli ; -- Begin function _ZL24rocblas_symm_hemm_kernelILb0ELb1ELi32EPK19rocblas_complex_numIdES3_PS1_EvbiiT2_T3_lllS6_lllT4_llli
	.p2align	8
	.type	_ZL24rocblas_symm_hemm_kernelILb0ELb1ELi32EPK19rocblas_complex_numIdES3_PS1_EvbiiT2_T3_lllS6_lllT4_llli,@function
_ZL24rocblas_symm_hemm_kernelILb0ELb1ELi32EPK19rocblas_complex_numIdES3_PS1_EvbiiT2_T3_lllS6_lllT4_llli: ; @_ZL24rocblas_symm_hemm_kernelILb0ELb1ELi32EPK19rocblas_complex_numIdES3_PS1_EvbiiT2_T3_lllS6_lllT4_llli
; %bb.0:
	s_load_dwordx16 s[12:27], s[4:5], 0x10
	s_waitcnt lgkmcnt(0)
	s_load_dwordx4 s[28:31], s[12:13], 0x0
	s_waitcnt lgkmcnt(0)
	v_cmp_eq_f64_e64 s[0:1], s[28:29], 0
	v_cmp_eq_f64_e64 s[2:3], s[30:31], 0
	s_and_b64 s[0:1], s[0:1], s[2:3]
	s_and_b64 vcc, exec, s[0:1]
	s_cbranch_vccnz .LBB20_13
; %bb.1:
	s_load_dwordx4 s[44:47], s[4:5], 0x0
	s_waitcnt lgkmcnt(0)
	s_add_i32 s0, s46, -1
	s_ashr_i32 s1, s0, 31
	s_lshr_b32 s1, s1, 27
	s_add_i32 s0, s0, s1
	s_ashr_i32 s12, s0, 5
	s_cmp_gt_i32 s7, s12
	s_cbranch_scc1 .LBB20_13
; %bb.2:
	s_mul_i32 s0, s8, s21
	s_mul_hi_u32 s1, s8, s20
	s_add_i32 s1, s1, s0
	s_mul_i32 s0, s8, s20
	s_lshl_b64 s[0:1], s[0:1], 4
	s_add_u32 s2, s14, s0
	s_addc_u32 s3, s15, s1
	s_lshl_b64 s[0:1], s[16:17], 4
	s_add_u32 s13, s2, s0
	s_addc_u32 s14, s3, s1
	s_load_dwordx2 s[2:3], s[4:5], 0x70
	s_load_dwordx8 s[36:43], s[4:5], 0x50
	s_load_dword s15, s[4:5], 0x84
	s_bitcmp1_b32 s44, 0
	s_cselect_b64 s[0:1], -1, 0
	v_and_b32_e32 v24, 0x3ff, v0
	s_waitcnt lgkmcnt(0)
	s_mul_i32 s3, s8, s3
	s_mul_hi_u32 s4, s8, s2
	s_add_i32 s3, s4, s3
	s_mul_i32 s2, s8, s2
	s_lshl_b64 s[2:3], s[2:3], 4
	s_add_u32 s4, s38, s2
	s_addc_u32 s5, s39, s3
	s_lshl_b64 s[2:3], s[40:41], 4
	s_add_u32 s4, s4, s2
	s_addc_u32 s5, s5, s3
	s_mul_i32 s2, s8, s37
	s_mul_hi_u32 s3, s8, s36
	s_add_i32 s3, s3, s2
	s_mul_i32 s2, s8, s36
	s_lshl_b64 s[2:3], s[2:3], 4
	s_add_u32 s8, s22, s2
	s_addc_u32 s9, s23, s3
	s_lshl_b64 s[2:3], s[24:25], 4
	v_lshl_add_u32 v2, s6, 5, v24
	s_add_u32 s8, s8, s2
	v_ashrrev_i32_e32 v3, 31, v2
	s_addc_u32 s9, s9, s3
	v_bfe_u32 v25, v0, 10, 10
	v_lshlrev_b64 v[0:1], 4, v[2:3]
	v_cmp_gt_i32_e64 s[2:3], s45, v2
	v_mov_b32_e32 v2, s9
	v_add_co_u32_e32 v26, vcc, s8, v0
	s_cmp_gt_i32 s46, 0
	v_addc_co_u32_e32 v27, vcc, v2, v1, vcc
	v_lshlrev_b32_e32 v2, 4, v25
	v_lshlrev_b32_e32 v28, 9, v24
	v_add_u32_e32 v29, v28, v2
	v_or_b32_e32 v30, 0x4000, v2
	v_mov_b32_e32 v2, s5
	v_add_co_u32_e32 v32, vcc, s4, v0
	s_cselect_b64 s[4:5], -1, 0
	v_cndmask_b32_e64 v0, 0, 1, s[4:5]
	v_add_u32_e32 v31, v30, v28
	v_addc_co_u32_e32 v33, vcc, v2, v1, vcc
	v_cmp_ne_u32_e64 s[4:5], 1, v0
	s_branch .LBB20_4
.LBB20_3:                               ;   in Loop: Header=BB20_4 Depth=1
	s_add_i32 s7, s7, s15
	s_cmp_gt_i32 s7, s12
	s_cbranch_scc1 .LBB20_13
.LBB20_4:                               ; =>This Loop Header: Depth=1
                                        ;     Child Loop BB20_7 Depth 2
	s_and_b64 vcc, exec, s[4:5]
	s_cbranch_vccnz .LBB20_3
; %bb.5:                                ;   in Loop: Header=BB20_4 Depth=1
	v_lshl_add_u32 v34, s7, 5, v25
	v_ashrrev_i32_e32 v0, 31, v34
	v_mul_lo_u32 v2, v0, s42
	v_mul_lo_u32 v3, v34, s43
	v_mad_u64_u32 v[0:1], s[10:11], v34, s42, 0
	v_add3_u32 v1, v1, v3, v2
	v_cmp_gt_i32_e32 vcc, s46, v34
	v_lshlrev_b64 v[0:1], 4, v[0:1]
	s_and_b64 s[8:9], s[2:3], vcc
	v_add_co_u32_e32 v16, vcc, v32, v0
	v_addc_co_u32_e32 v17, vcc, v33, v1, vcc
	s_mov_b32 s6, 0
	s_branch .LBB20_7
.LBB20_6:                               ;   in Loop: Header=BB20_7 Depth=2
	s_or_b64 exec, exec, s[10:11]
	s_add_i32 s6, s6, 32
	s_cmp_ge_i32 s6, s46
	s_barrier
	s_cbranch_scc1 .LBB20_3
.LBB20_7:                               ;   Parent Loop BB20_4 Depth=1
                                        ; =>  This Inner Loop Header: Depth=2
	v_add_u32_e32 v6, s6, v25
	v_cmp_gt_i32_e32 vcc, s46, v6
	v_pk_mov_b32 v[0:1], 0, 0
	s_and_b64 s[16:17], s[2:3], vcc
	v_pk_mov_b32 v[2:3], v[0:1], v[0:1] op_sel:[0,1]
	v_pk_mov_b32 v[4:5], v[0:1], v[0:1] op_sel:[0,1]
	s_and_saveexec_b64 s[10:11], s[16:17]
	s_cbranch_execz .LBB20_9
; %bb.8:                                ;   in Loop: Header=BB20_7 Depth=2
	v_ashrrev_i32_e32 v2, 31, v6
	v_mul_lo_u32 v4, v6, s27
	v_mul_lo_u32 v5, v2, s26
	v_mad_u64_u32 v[2:3], s[16:17], v6, s26, 0
	v_add3_u32 v3, v3, v4, v5
	v_lshlrev_b64 v[2:3], 4, v[2:3]
	v_add_co_u32_e32 v2, vcc, v26, v2
	v_addc_co_u32_e32 v3, vcc, v27, v3, vcc
	global_load_dwordx4 v[2:5], v[2:3], off
.LBB20_9:                               ;   in Loop: Header=BB20_7 Depth=2
	s_or_b64 exec, exec, s[10:11]
	s_waitcnt vmcnt(0)
	ds_write_b128 v29, v[2:5]
	v_add_u32_e32 v2, s6, v24
	v_cndmask_b32_e64 v3, v34, v2, s[0:1]
	v_cndmask_b32_e64 v4, v2, v34, s[0:1]
	v_cmp_gt_i32_e32 vcc, v3, v4
	v_cndmask_b32_e32 v4, v2, v34, vcc
	v_cndmask_b32_e32 v5, v34, v2, vcc
	v_max_i32_e32 v2, v4, v5
	v_cmp_gt_i32_e32 vcc, s46, v2
	v_pk_mov_b32 v[2:3], v[0:1], v[0:1] op_sel:[0,1]
	s_and_saveexec_b64 s[10:11], vcc
	s_cbranch_execz .LBB20_11
; %bb.10:                               ;   in Loop: Header=BB20_7 Depth=2
	v_ashrrev_i32_e32 v0, 31, v5
	v_mul_lo_u32 v2, v5, s19
	v_mul_lo_u32 v3, v0, s18
	v_mad_u64_u32 v[0:1], s[16:17], v5, s18, 0
	v_add3_u32 v1, v1, v2, v3
	v_lshlrev_b64 v[0:1], 4, v[0:1]
	v_ashrrev_i32_e32 v5, 31, v4
	v_mov_b32_e32 v2, s14
	v_add_co_u32_e32 v3, vcc, s13, v0
	v_addc_co_u32_e32 v2, vcc, v2, v1, vcc
	v_lshlrev_b64 v[0:1], 4, v[4:5]
	v_add_co_u32_e32 v0, vcc, v3, v0
	v_addc_co_u32_e32 v1, vcc, v2, v1, vcc
	global_load_dwordx4 v[0:3], v[0:1], off
.LBB20_11:                              ;   in Loop: Header=BB20_7 Depth=2
	s_or_b64 exec, exec, s[10:11]
	s_waitcnt vmcnt(0)
	ds_write_b128 v31, v[0:3]
	s_waitcnt lgkmcnt(0)
	s_barrier
	s_and_saveexec_b64 s[10:11], s[8:9]
	s_cbranch_execz .LBB20_6
; %bb.12:                               ;   in Loop: Header=BB20_7 Depth=2
	ds_read_b128 v[0:3], v30
	ds_read_b128 v[4:7], v28
	ds_read_b128 v[8:11], v28 offset:16
	ds_read_b128 v[12:15], v28 offset:32
	;; [unrolled: 1-line block ×4, first 2 shown]
	s_waitcnt lgkmcnt(4)
	v_mul_f64 v[22:23], v[2:3], v[6:7]
	v_fma_f64 v[22:23], v[0:1], v[4:5], -v[22:23]
	v_mul_f64 v[0:1], v[0:1], v[6:7]
	v_fmac_f64_e32 v[0:1], v[2:3], v[4:5]
	v_add_f64 v[6:7], v[0:1], 0
	s_waitcnt lgkmcnt(0)
	v_mul_f64 v[0:1], v[38:39], v[10:11]
	v_add_f64 v[4:5], v[22:23], 0
	v_fma_f64 v[22:23], v[36:37], v[8:9], -v[0:1]
	ds_read_b128 v[0:3], v30 offset:1024
	v_mul_f64 v[10:11], v[36:37], v[10:11]
	v_fmac_f64_e32 v[10:11], v[38:39], v[8:9]
	v_add_f64 v[8:9], v[4:5], v[22:23]
	v_add_f64 v[10:11], v[6:7], v[10:11]
	ds_read_b128 v[4:7], v30 offset:1536
	s_waitcnt lgkmcnt(1)
	v_mul_f64 v[22:23], v[2:3], v[14:15]
	v_fma_f64 v[22:23], v[0:1], v[12:13], -v[22:23]
	v_mul_f64 v[0:1], v[0:1], v[14:15]
	v_fmac_f64_e32 v[0:1], v[2:3], v[12:13]
	v_add_f64 v[10:11], v[10:11], v[0:1]
	s_waitcnt lgkmcnt(0)
	v_mul_f64 v[0:1], v[6:7], v[20:21]
	v_mul_f64 v[14:15], v[4:5], v[20:21]
	v_add_f64 v[8:9], v[8:9], v[22:23]
	v_fma_f64 v[12:13], v[4:5], v[18:19], -v[0:1]
	v_fmac_f64_e32 v[14:15], v[6:7], v[18:19]
	ds_read_b128 v[0:3], v28 offset:64
	ds_read_b128 v[4:7], v30 offset:2048
	v_add_f64 v[18:19], v[8:9], v[12:13]
	v_add_f64 v[20:21], v[10:11], v[14:15]
	ds_read_b128 v[8:11], v30 offset:2560
	ds_read_b128 v[12:15], v28 offset:80
	s_waitcnt lgkmcnt(2)
	v_mul_f64 v[22:23], v[6:7], v[2:3]
	v_mul_f64 v[2:3], v[4:5], v[2:3]
	v_fma_f64 v[22:23], v[4:5], v[0:1], -v[22:23]
	v_fmac_f64_e32 v[2:3], v[6:7], v[0:1]
	s_waitcnt lgkmcnt(0)
	v_mul_f64 v[0:1], v[10:11], v[14:15]
	v_add_f64 v[18:19], v[18:19], v[22:23]
	v_fma_f64 v[22:23], v[8:9], v[12:13], -v[0:1]
	v_mul_f64 v[8:9], v[8:9], v[14:15]
	v_add_f64 v[20:21], v[20:21], v[2:3]
	v_fmac_f64_e32 v[8:9], v[10:11], v[12:13]
	ds_read_b128 v[0:3], v28 offset:96
	ds_read_b128 v[4:7], v30 offset:3072
	v_add_f64 v[20:21], v[20:21], v[8:9]
	ds_read_b128 v[8:11], v30 offset:3584
	ds_read_b128 v[12:15], v28 offset:112
	v_add_f64 v[18:19], v[18:19], v[22:23]
	s_waitcnt lgkmcnt(2)
	v_mul_f64 v[22:23], v[6:7], v[2:3]
	v_mul_f64 v[2:3], v[4:5], v[2:3]
	v_fma_f64 v[22:23], v[4:5], v[0:1], -v[22:23]
	v_fmac_f64_e32 v[2:3], v[6:7], v[0:1]
	s_waitcnt lgkmcnt(0)
	v_mul_f64 v[0:1], v[10:11], v[14:15]
	v_add_f64 v[18:19], v[18:19], v[22:23]
	v_fma_f64 v[22:23], v[8:9], v[12:13], -v[0:1]
	v_mul_f64 v[8:9], v[8:9], v[14:15]
	v_add_f64 v[20:21], v[20:21], v[2:3]
	v_fmac_f64_e32 v[8:9], v[10:11], v[12:13]
	ds_read_b128 v[0:3], v28 offset:128
	ds_read_b128 v[4:7], v30 offset:4096
	v_add_f64 v[20:21], v[20:21], v[8:9]
	ds_read_b128 v[8:11], v30 offset:4608
	ds_read_b128 v[12:15], v28 offset:144
	v_add_f64 v[18:19], v[18:19], v[22:23]
	;; [unrolled: 18-line block ×8, first 2 shown]
	s_waitcnt lgkmcnt(2)
	v_mul_f64 v[22:23], v[6:7], v[2:3]
	v_mul_f64 v[2:3], v[4:5], v[2:3]
	v_fma_f64 v[22:23], v[4:5], v[0:1], -v[22:23]
	v_fmac_f64_e32 v[2:3], v[6:7], v[0:1]
	s_waitcnt lgkmcnt(0)
	v_mul_f64 v[0:1], v[10:11], v[14:15]
	v_add_f64 v[18:19], v[18:19], v[22:23]
	v_fma_f64 v[22:23], v[8:9], v[12:13], -v[0:1]
	v_mul_f64 v[8:9], v[8:9], v[14:15]
	v_add_f64 v[20:21], v[20:21], v[2:3]
	v_fmac_f64_e32 v[8:9], v[10:11], v[12:13]
	ds_read_b128 v[0:3], v28 offset:352
	ds_read_b128 v[4:7], v30 offset:11264
	v_add_f64 v[20:21], v[20:21], v[8:9]
	ds_read_b128 v[8:11], v30 offset:11776
	ds_read_b128 v[12:15], v28 offset:368
	global_load_dwordx4 v[36:39], v[16:17], off
	v_add_f64 v[18:19], v[18:19], v[22:23]
	s_waitcnt lgkmcnt(2)
	v_mul_f64 v[22:23], v[6:7], v[2:3]
	v_mul_f64 v[2:3], v[4:5], v[2:3]
	v_fma_f64 v[22:23], v[4:5], v[0:1], -v[22:23]
	v_fmac_f64_e32 v[2:3], v[6:7], v[0:1]
	s_waitcnt lgkmcnt(0)
	v_mul_f64 v[0:1], v[10:11], v[14:15]
	v_add_f64 v[18:19], v[18:19], v[22:23]
	v_fma_f64 v[22:23], v[8:9], v[12:13], -v[0:1]
	v_mul_f64 v[8:9], v[8:9], v[14:15]
	v_add_f64 v[20:21], v[20:21], v[2:3]
	v_fmac_f64_e32 v[8:9], v[10:11], v[12:13]
	ds_read_b128 v[0:3], v28 offset:384
	ds_read_b128 v[4:7], v30 offset:12288
	v_add_f64 v[20:21], v[20:21], v[8:9]
	ds_read_b128 v[8:11], v30 offset:12800
	ds_read_b128 v[12:15], v28 offset:400
	v_add_f64 v[18:19], v[18:19], v[22:23]
	s_waitcnt lgkmcnt(2)
	v_mul_f64 v[22:23], v[6:7], v[2:3]
	v_mul_f64 v[2:3], v[4:5], v[2:3]
	v_fma_f64 v[22:23], v[4:5], v[0:1], -v[22:23]
	v_fmac_f64_e32 v[2:3], v[6:7], v[0:1]
	s_waitcnt lgkmcnt(0)
	v_mul_f64 v[0:1], v[10:11], v[14:15]
	v_add_f64 v[18:19], v[18:19], v[22:23]
	v_fma_f64 v[22:23], v[8:9], v[12:13], -v[0:1]
	v_mul_f64 v[8:9], v[8:9], v[14:15]
	v_add_f64 v[20:21], v[20:21], v[2:3]
	v_fmac_f64_e32 v[8:9], v[10:11], v[12:13]
	ds_read_b128 v[0:3], v28 offset:416
	ds_read_b128 v[4:7], v30 offset:13312
	v_add_f64 v[20:21], v[20:21], v[8:9]
	ds_read_b128 v[8:11], v30 offset:13824
	ds_read_b128 v[12:15], v28 offset:432
	v_add_f64 v[18:19], v[18:19], v[22:23]
	s_waitcnt lgkmcnt(2)
	v_mul_f64 v[22:23], v[6:7], v[2:3]
	v_mul_f64 v[2:3], v[4:5], v[2:3]
	v_fma_f64 v[22:23], v[4:5], v[0:1], -v[22:23]
	v_fmac_f64_e32 v[2:3], v[6:7], v[0:1]
	s_waitcnt lgkmcnt(0)
	v_mul_f64 v[0:1], v[10:11], v[14:15]
	v_add_f64 v[18:19], v[18:19], v[22:23]
	v_fma_f64 v[22:23], v[8:9], v[12:13], -v[0:1]
	v_mul_f64 v[8:9], v[8:9], v[14:15]
	v_add_f64 v[20:21], v[20:21], v[2:3]
	v_fmac_f64_e32 v[8:9], v[10:11], v[12:13]
	ds_read_b128 v[0:3], v28 offset:448
	ds_read_b128 v[4:7], v30 offset:14336
	v_add_f64 v[20:21], v[20:21], v[8:9]
	ds_read_b128 v[8:11], v30 offset:14848
	ds_read_b128 v[12:15], v28 offset:464
	v_add_f64 v[18:19], v[18:19], v[22:23]
	s_waitcnt lgkmcnt(2)
	v_mul_f64 v[22:23], v[6:7], v[2:3]
	v_mul_f64 v[2:3], v[4:5], v[2:3]
	v_fma_f64 v[22:23], v[4:5], v[0:1], -v[22:23]
	v_fmac_f64_e32 v[2:3], v[6:7], v[0:1]
	s_waitcnt lgkmcnt(0)
	v_mul_f64 v[0:1], v[10:11], v[14:15]
	v_add_f64 v[18:19], v[18:19], v[22:23]
	v_fma_f64 v[22:23], v[8:9], v[12:13], -v[0:1]
	v_mul_f64 v[8:9], v[8:9], v[14:15]
	v_add_f64 v[20:21], v[20:21], v[2:3]
	v_fmac_f64_e32 v[8:9], v[10:11], v[12:13]
	ds_read_b128 v[0:3], v28 offset:480
	ds_read_b128 v[4:7], v30 offset:15360
	v_add_f64 v[20:21], v[20:21], v[8:9]
	ds_read_b128 v[8:11], v30 offset:15872
	ds_read_b128 v[12:15], v28 offset:496
	v_add_f64 v[18:19], v[18:19], v[22:23]
	s_waitcnt lgkmcnt(2)
	v_mul_f64 v[22:23], v[6:7], v[2:3]
	v_mul_f64 v[2:3], v[4:5], v[2:3]
	v_fma_f64 v[22:23], v[4:5], v[0:1], -v[22:23]
	v_fmac_f64_e32 v[2:3], v[6:7], v[0:1]
	s_waitcnt lgkmcnt(0)
	v_mul_f64 v[4:5], v[10:11], v[14:15]
	v_mul_f64 v[6:7], v[8:9], v[14:15]
	v_add_f64 v[0:1], v[18:19], v[22:23]
	v_add_f64 v[2:3], v[20:21], v[2:3]
	v_fma_f64 v[4:5], v[8:9], v[12:13], -v[4:5]
	v_fmac_f64_e32 v[6:7], v[10:11], v[12:13]
	v_add_f64 v[0:1], v[0:1], v[4:5]
	v_add_f64 v[2:3], v[2:3], v[6:7]
	v_mul_f64 v[4:5], s[30:31], v[2:3]
	v_mul_f64 v[6:7], s[30:31], v[0:1]
	v_fma_f64 v[4:5], s[28:29], v[0:1], -v[4:5]
	v_fmac_f64_e32 v[6:7], s[28:29], v[2:3]
	s_waitcnt vmcnt(0)
	v_add_f64 v[0:1], v[36:37], v[4:5]
	v_add_f64 v[2:3], v[38:39], v[6:7]
	global_store_dwordx4 v[16:17], v[0:3], off
	s_branch .LBB20_6
.LBB20_13:
	s_endpgm
	.section	.rodata,"a",@progbits
	.p2align	6, 0x0
	.amdhsa_kernel _ZL24rocblas_symm_hemm_kernelILb0ELb1ELi32EPK19rocblas_complex_numIdES3_PS1_EvbiiT2_T3_lllS6_lllT4_llli
		.amdhsa_group_segment_fixed_size 32768
		.amdhsa_private_segment_fixed_size 0
		.amdhsa_kernarg_size 384
		.amdhsa_user_sgpr_count 6
		.amdhsa_user_sgpr_private_segment_buffer 1
		.amdhsa_user_sgpr_dispatch_ptr 0
		.amdhsa_user_sgpr_queue_ptr 0
		.amdhsa_user_sgpr_kernarg_segment_ptr 1
		.amdhsa_user_sgpr_dispatch_id 0
		.amdhsa_user_sgpr_flat_scratch_init 0
		.amdhsa_user_sgpr_kernarg_preload_length 0
		.amdhsa_user_sgpr_kernarg_preload_offset 0
		.amdhsa_user_sgpr_private_segment_size 0
		.amdhsa_uses_dynamic_stack 0
		.amdhsa_system_sgpr_private_segment_wavefront_offset 0
		.amdhsa_system_sgpr_workgroup_id_x 1
		.amdhsa_system_sgpr_workgroup_id_y 1
		.amdhsa_system_sgpr_workgroup_id_z 1
		.amdhsa_system_sgpr_workgroup_info 0
		.amdhsa_system_vgpr_workitem_id 1
		.amdhsa_next_free_vgpr 40
		.amdhsa_next_free_sgpr 48
		.amdhsa_accum_offset 40
		.amdhsa_reserve_vcc 1
		.amdhsa_reserve_flat_scratch 0
		.amdhsa_float_round_mode_32 0
		.amdhsa_float_round_mode_16_64 0
		.amdhsa_float_denorm_mode_32 3
		.amdhsa_float_denorm_mode_16_64 3
		.amdhsa_dx10_clamp 1
		.amdhsa_ieee_mode 1
		.amdhsa_fp16_overflow 0
		.amdhsa_tg_split 0
		.amdhsa_exception_fp_ieee_invalid_op 0
		.amdhsa_exception_fp_denorm_src 0
		.amdhsa_exception_fp_ieee_div_zero 0
		.amdhsa_exception_fp_ieee_overflow 0
		.amdhsa_exception_fp_ieee_underflow 0
		.amdhsa_exception_fp_ieee_inexact 0
		.amdhsa_exception_int_div_zero 0
	.end_amdhsa_kernel
	.section	.text._ZL24rocblas_symm_hemm_kernelILb0ELb1ELi32EPK19rocblas_complex_numIdES3_PS1_EvbiiT2_T3_lllS6_lllT4_llli,"axG",@progbits,_ZL24rocblas_symm_hemm_kernelILb0ELb1ELi32EPK19rocblas_complex_numIdES3_PS1_EvbiiT2_T3_lllS6_lllT4_llli,comdat
.Lfunc_end20:
	.size	_ZL24rocblas_symm_hemm_kernelILb0ELb1ELi32EPK19rocblas_complex_numIdES3_PS1_EvbiiT2_T3_lllS6_lllT4_llli, .Lfunc_end20-_ZL24rocblas_symm_hemm_kernelILb0ELb1ELi32EPK19rocblas_complex_numIdES3_PS1_EvbiiT2_T3_lllS6_lllT4_llli
                                        ; -- End function
	.section	.AMDGPU.csdata,"",@progbits
; Kernel info:
; codeLenInByte = 2896
; NumSgprs: 52
; NumVgprs: 40
; NumAgprs: 0
; TotalNumVgprs: 40
; ScratchSize: 0
; MemoryBound: 1
; FloatMode: 240
; IeeeMode: 1
; LDSByteSize: 32768 bytes/workgroup (compile time only)
; SGPRBlocks: 6
; VGPRBlocks: 4
; NumSGPRsForWavesPerEU: 52
; NumVGPRsForWavesPerEU: 40
; AccumOffset: 40
; Occupancy: 8
; WaveLimiterHint : 0
; COMPUTE_PGM_RSRC2:SCRATCH_EN: 0
; COMPUTE_PGM_RSRC2:USER_SGPR: 6
; COMPUTE_PGM_RSRC2:TRAP_HANDLER: 0
; COMPUTE_PGM_RSRC2:TGID_X_EN: 1
; COMPUTE_PGM_RSRC2:TGID_Y_EN: 1
; COMPUTE_PGM_RSRC2:TGID_Z_EN: 1
; COMPUTE_PGM_RSRC2:TIDIG_COMP_CNT: 1
; COMPUTE_PGM_RSRC3_GFX90A:ACCUM_OFFSET: 9
; COMPUTE_PGM_RSRC3_GFX90A:TG_SPLIT: 0
	.section	.text._ZL25rocblas_symm_scale_kernelILi128ELi8E19rocblas_complex_numIdEPS1_EviiT1_T2_llli,"axG",@progbits,_ZL25rocblas_symm_scale_kernelILi128ELi8E19rocblas_complex_numIdEPS1_EviiT1_T2_llli,comdat
	.globl	_ZL25rocblas_symm_scale_kernelILi128ELi8E19rocblas_complex_numIdEPS1_EviiT1_T2_llli ; -- Begin function _ZL25rocblas_symm_scale_kernelILi128ELi8E19rocblas_complex_numIdEPS1_EviiT1_T2_llli
	.p2align	8
	.type	_ZL25rocblas_symm_scale_kernelILi128ELi8E19rocblas_complex_numIdEPS1_EviiT1_T2_llli,@function
_ZL25rocblas_symm_scale_kernelILi128ELi8E19rocblas_complex_numIdEPS1_EviiT1_T2_llli: ; @_ZL25rocblas_symm_scale_kernelILi128ELi8E19rocblas_complex_numIdEPS1_EviiT1_T2_llli
; %bb.0:
	s_load_dwordx8 s[12:19], s[4:5], 0x8
	s_waitcnt lgkmcnt(0)
	v_cmp_eq_f64_e64 s[0:1], s[12:13], 1.0
	v_cmp_eq_f64_e64 s[2:3], s[14:15], 0
	s_and_b64 s[0:1], s[0:1], s[2:3]
	s_and_b64 vcc, exec, s[0:1]
	s_cbranch_vccnz .LBB21_6
; %bb.1:
	s_load_dwordx2 s[0:1], s[4:5], 0x0
	v_and_b32_e32 v1, 0x3ff, v0
	v_bfe_u32 v0, v0, 10, 10
	v_lshl_add_u32 v2, s6, 7, v1
	v_lshl_add_u32 v4, s7, 3, v0
	v_mov_b32_e32 v5, 0
	s_waitcnt lgkmcnt(0)
	s_ashr_i32 s7, s1, 31
	s_mov_b32 s6, s1
	v_cmp_gt_u32_e32 vcc, s0, v2
	v_cmp_gt_i64_e64 s[0:1], s[6:7], v[4:5]
	s_and_b64 s[0:1], vcc, s[0:1]
	s_and_saveexec_b64 s[2:3], s[0:1]
	s_cbranch_execz .LBB21_6
; %bb.2:
	s_load_dwordx4 s[0:3], s[4:5], 0x28
	s_load_dword s9, s[4:5], 0x44
	v_cmp_neq_f64_e64 s[20:21], s[12:13], 0
	v_cmp_neq_f64_e64 s[4:5], s[14:15], 0
	s_or_b64 s[20:21], s[20:21], s[4:5]
	s_waitcnt lgkmcnt(0)
	s_mul_i32 s3, s3, s8
	s_lshl_b32 s4, s9, 3
	s_mul_hi_u32 s9, s2, s8
	s_add_i32 s3, s9, s3
	s_mul_i32 s2, s2, s8
	v_mad_u64_u32 v[0:1], s[8:9], s0, v4, 0
	v_mov_b32_e32 v6, v1
	v_mad_u64_u32 v[6:7], s[8:9], s1, v4, v[6:7]
	s_lshl_b64 s[2:3], s[2:3], 4
	s_lshl_b64 s[8:9], s[18:19], 4
	v_mov_b32_e32 v1, v6
	s_add_u32 s2, s8, s2
	v_lshlrev_b64 v[0:1], 4, v[0:1]
	s_addc_u32 s3, s9, s3
	v_mov_b32_e32 v3, v5
	v_mov_b32_e32 v6, s3
	v_add_co_u32_e32 v7, vcc, s2, v0
	v_addc_co_u32_e32 v6, vcc, v6, v1, vcc
	v_lshlrev_b64 v[0:1], 4, v[2:3]
	v_add_co_u32_e32 v0, vcc, v7, v0
	v_addc_co_u32_e32 v1, vcc, v6, v1, vcc
	v_mov_b32_e32 v2, s17
	v_add_co_u32_e32 v0, vcc, s16, v0
	s_mul_i32 s1, s1, s4
	s_mul_hi_u32 s2, s0, s4
	v_addc_co_u32_e32 v1, vcc, v1, v2, vcc
	s_add_i32 s1, s2, s1
	s_mul_i32 s0, s0, s4
	s_mov_b32 s5, 0
	v_add_co_u32_e32 v6, vcc, 8, v0
	s_lshl_b64 s[2:3], s[0:1], 4
	v_cndmask_b32_e64 v0, 0, 1, s[20:21]
	s_mov_b64 s[10:11], 0
	v_addc_co_u32_e32 v7, vcc, 0, v1, vcc
	v_cmp_ne_u32_e64 s[0:1], 1, v0
	v_mov_b32_e32 v8, s5
	v_mov_b32_e32 v9, s3
	s_branch .LBB21_4
.LBB21_3:                               ;   in Loop: Header=BB21_4 Depth=1
	v_add_co_u32_e32 v4, vcc, s4, v4
	v_addc_co_u32_e32 v5, vcc, v5, v8, vcc
	v_cmp_le_i64_e32 vcc, s[6:7], v[4:5]
	global_store_dwordx4 v[6:7], v[0:3], off offset:-8
	s_or_b64 s[10:11], vcc, s[10:11]
	v_add_co_u32_e32 v6, vcc, s2, v6
	v_addc_co_u32_e32 v7, vcc, v7, v9, vcc
	s_andn2_b64 exec, exec, s[10:11]
	s_cbranch_execz .LBB21_6
.LBB21_4:                               ; =>This Inner Loop Header: Depth=1
	v_pk_mov_b32 v[2:3], 0, 0
	s_and_b64 vcc, exec, s[0:1]
	v_pk_mov_b32 v[0:1], v[2:3], v[2:3] op_sel:[0,1]
	s_cbranch_vccnz .LBB21_3
; %bb.5:                                ;   in Loop: Header=BB21_4 Depth=1
	global_load_dwordx4 v[10:13], v[6:7], off offset:-8
	s_waitcnt vmcnt(0)
	v_mul_f64 v[0:1], s[14:15], v[12:13]
	v_mul_f64 v[2:3], s[12:13], v[12:13]
	v_fma_f64 v[0:1], s[12:13], v[10:11], -v[0:1]
	v_fmac_f64_e32 v[2:3], s[14:15], v[10:11]
	s_branch .LBB21_3
.LBB21_6:
	s_endpgm
	.section	.rodata,"a",@progbits
	.p2align	6, 0x0
	.amdhsa_kernel _ZL25rocblas_symm_scale_kernelILi128ELi8E19rocblas_complex_numIdEPS1_EviiT1_T2_llli
		.amdhsa_group_segment_fixed_size 0
		.amdhsa_private_segment_fixed_size 0
		.amdhsa_kernarg_size 320
		.amdhsa_user_sgpr_count 6
		.amdhsa_user_sgpr_private_segment_buffer 1
		.amdhsa_user_sgpr_dispatch_ptr 0
		.amdhsa_user_sgpr_queue_ptr 0
		.amdhsa_user_sgpr_kernarg_segment_ptr 1
		.amdhsa_user_sgpr_dispatch_id 0
		.amdhsa_user_sgpr_flat_scratch_init 0
		.amdhsa_user_sgpr_kernarg_preload_length 0
		.amdhsa_user_sgpr_kernarg_preload_offset 0
		.amdhsa_user_sgpr_private_segment_size 0
		.amdhsa_uses_dynamic_stack 0
		.amdhsa_system_sgpr_private_segment_wavefront_offset 0
		.amdhsa_system_sgpr_workgroup_id_x 1
		.amdhsa_system_sgpr_workgroup_id_y 1
		.amdhsa_system_sgpr_workgroup_id_z 1
		.amdhsa_system_sgpr_workgroup_info 0
		.amdhsa_system_vgpr_workitem_id 1
		.amdhsa_next_free_vgpr 14
		.amdhsa_next_free_sgpr 22
		.amdhsa_accum_offset 16
		.amdhsa_reserve_vcc 1
		.amdhsa_reserve_flat_scratch 0
		.amdhsa_float_round_mode_32 0
		.amdhsa_float_round_mode_16_64 0
		.amdhsa_float_denorm_mode_32 3
		.amdhsa_float_denorm_mode_16_64 3
		.amdhsa_dx10_clamp 1
		.amdhsa_ieee_mode 1
		.amdhsa_fp16_overflow 0
		.amdhsa_tg_split 0
		.amdhsa_exception_fp_ieee_invalid_op 0
		.amdhsa_exception_fp_denorm_src 0
		.amdhsa_exception_fp_ieee_div_zero 0
		.amdhsa_exception_fp_ieee_overflow 0
		.amdhsa_exception_fp_ieee_underflow 0
		.amdhsa_exception_fp_ieee_inexact 0
		.amdhsa_exception_int_div_zero 0
	.end_amdhsa_kernel
	.section	.text._ZL25rocblas_symm_scale_kernelILi128ELi8E19rocblas_complex_numIdEPS1_EviiT1_T2_llli,"axG",@progbits,_ZL25rocblas_symm_scale_kernelILi128ELi8E19rocblas_complex_numIdEPS1_EviiT1_T2_llli,comdat
.Lfunc_end21:
	.size	_ZL25rocblas_symm_scale_kernelILi128ELi8E19rocblas_complex_numIdEPS1_EviiT1_T2_llli, .Lfunc_end21-_ZL25rocblas_symm_scale_kernelILi128ELi8E19rocblas_complex_numIdEPS1_EviiT1_T2_llli
                                        ; -- End function
	.section	.AMDGPU.csdata,"",@progbits
; Kernel info:
; codeLenInByte = 448
; NumSgprs: 26
; NumVgprs: 14
; NumAgprs: 0
; TotalNumVgprs: 14
; ScratchSize: 0
; MemoryBound: 0
; FloatMode: 240
; IeeeMode: 1
; LDSByteSize: 0 bytes/workgroup (compile time only)
; SGPRBlocks: 3
; VGPRBlocks: 1
; NumSGPRsForWavesPerEU: 26
; NumVGPRsForWavesPerEU: 14
; AccumOffset: 16
; Occupancy: 8
; WaveLimiterHint : 0
; COMPUTE_PGM_RSRC2:SCRATCH_EN: 0
; COMPUTE_PGM_RSRC2:USER_SGPR: 6
; COMPUTE_PGM_RSRC2:TRAP_HANDLER: 0
; COMPUTE_PGM_RSRC2:TGID_X_EN: 1
; COMPUTE_PGM_RSRC2:TGID_Y_EN: 1
; COMPUTE_PGM_RSRC2:TGID_Z_EN: 1
; COMPUTE_PGM_RSRC2:TIDIG_COMP_CNT: 1
; COMPUTE_PGM_RSRC3_GFX90A:ACCUM_OFFSET: 3
; COMPUTE_PGM_RSRC3_GFX90A:TG_SPLIT: 0
	.section	.text._ZL24rocblas_symm_hemm_kernelILb0ELb0ELi32E19rocblas_complex_numIdEPKS1_PS1_EvbiiT2_T3_lllS6_lllT4_llli,"axG",@progbits,_ZL24rocblas_symm_hemm_kernelILb0ELb0ELi32E19rocblas_complex_numIdEPKS1_PS1_EvbiiT2_T3_lllS6_lllT4_llli,comdat
	.globl	_ZL24rocblas_symm_hemm_kernelILb0ELb0ELi32E19rocblas_complex_numIdEPKS1_PS1_EvbiiT2_T3_lllS6_lllT4_llli ; -- Begin function _ZL24rocblas_symm_hemm_kernelILb0ELb0ELi32E19rocblas_complex_numIdEPKS1_PS1_EvbiiT2_T3_lllS6_lllT4_llli
	.p2align	8
	.type	_ZL24rocblas_symm_hemm_kernelILb0ELb0ELi32E19rocblas_complex_numIdEPKS1_PS1_EvbiiT2_T3_lllS6_lllT4_llli,@function
_ZL24rocblas_symm_hemm_kernelILb0ELb0ELi32E19rocblas_complex_numIdEPKS1_PS1_EvbiiT2_T3_lllS6_lllT4_llli: ; @_ZL24rocblas_symm_hemm_kernelILb0ELb0ELi32E19rocblas_complex_numIdEPKS1_PS1_EvbiiT2_T3_lllS6_lllT4_llli
; %bb.0:
	s_load_dwordx16 s[12:27], s[4:5], 0x10
	s_waitcnt lgkmcnt(0)
	v_cmp_eq_f64_e64 s[0:1], s[12:13], 0
	v_cmp_eq_f64_e64 s[2:3], s[14:15], 0
	s_and_b64 s[0:1], s[0:1], s[2:3]
	s_and_b64 vcc, exec, s[0:1]
	s_cbranch_vccnz .LBB22_13
; %bb.1:
	s_load_dwordx4 s[28:31], s[4:5], 0x0
	s_waitcnt lgkmcnt(0)
	s_add_i32 s0, s30, -1
	s_ashr_i32 s1, s0, 31
	s_lshr_b32 s1, s1, 27
	s_add_i32 s0, s0, s1
	s_ashr_i32 s31, s0, 5
	s_cmp_gt_i32 s7, s31
	s_cbranch_scc1 .LBB22_13
; %bb.2:
	s_mul_i32 s0, s8, s23
	s_mul_hi_u32 s1, s8, s22
	s_load_dwordx8 s[36:43], s[4:5], 0x50
	s_add_i32 s1, s1, s0
	s_mul_i32 s0, s8, s22
	s_lshl_b64 s[0:1], s[0:1], 4
	s_add_u32 s2, s16, s0
	s_addc_u32 s3, s17, s1
	s_lshl_b64 s[0:1], s[18:19], 4
	s_add_u32 s22, s2, s0
	s_addc_u32 s23, s3, s1
	s_waitcnt lgkmcnt(0)
	s_mul_i32 s0, s8, s39
	s_mul_hi_u32 s1, s8, s38
	s_add_i32 s1, s1, s0
	s_mul_i32 s0, s8, s38
	s_lshl_b64 s[0:1], s[0:1], 4
	s_load_dwordx4 s[16:19], s[4:5], 0x70
	s_add_u32 s2, s24, s0
	s_addc_u32 s3, s25, s1
	s_lshl_b64 s[0:1], s[26:27], 4
	s_load_dword s26, s[4:5], 0x8c
	s_add_u32 s24, s2, s0
	s_addc_u32 s25, s3, s1
	s_bitcmp1_b32 s28, 0
	s_waitcnt lgkmcnt(0)
	s_mul_i32 s2, s8, s19
	s_mul_hi_u32 s3, s8, s18
	s_cselect_b64 s[0:1], -1, 0
	s_add_i32 s3, s3, s2
	s_mul_i32 s2, s8, s18
	s_lshl_b64 s[2:3], s[2:3], 4
	s_add_u32 s4, s40, s2
	s_addc_u32 s5, s41, s3
	s_lshl_b64 s[2:3], s[42:43], 4
	v_and_b32_e32 v26, 0x3ff, v0
	s_add_u32 s4, s4, s2
	v_lshl_add_u32 v16, s6, 5, v26
	v_bfe_u32 v27, v0, 10, 10
	s_addc_u32 s5, s5, s3
	v_lshlrev_b32_e32 v0, 4, v27
	v_lshlrev_b32_e32 v28, 9, v26
	v_ashrrev_i32_e32 v17, 31, v16
	s_cmp_gt_i32 s29, 0
	v_add_u32_e32 v29, v28, v0
	v_or_b32_e32 v30, 0x4000, v0
	v_lshlrev_b64 v[0:1], 4, v[16:17]
	v_mov_b32_e32 v2, s5
	v_add_co_u32_e32 v17, vcc, s4, v0
	s_cselect_b64 s[4:5], -1, 0
	v_cndmask_b32_e64 v0, 0, 1, s[4:5]
	v_add_u32_e32 v31, v30, v28
	v_cmp_gt_i32_e64 s[2:3], s29, v16
	v_addc_co_u32_e32 v32, vcc, v2, v1, vcc
	v_cmp_ne_u32_e64 s[4:5], 1, v0
	s_branch .LBB22_4
.LBB22_3:                               ;   in Loop: Header=BB22_4 Depth=1
	s_add_i32 s7, s7, s26
	s_cmp_gt_i32 s7, s31
	s_cbranch_scc1 .LBB22_13
.LBB22_4:                               ; =>This Loop Header: Depth=1
                                        ;     Child Loop BB22_7 Depth 2
	s_and_b64 vcc, exec, s[4:5]
	s_cbranch_vccnz .LBB22_3
; %bb.5:                                ;   in Loop: Header=BB22_4 Depth=1
	v_lshl_add_u32 v2, s7, 5, v27
	v_ashrrev_i32_e32 v3, 31, v2
	v_mul_lo_u32 v4, v3, s36
	v_mul_lo_u32 v5, v2, s37
	v_mad_u64_u32 v[0:1], s[8:9], v2, s36, 0
	v_add3_u32 v1, v1, v5, v4
	v_lshlrev_b64 v[0:1], 4, v[0:1]
	v_mov_b32_e32 v4, s25
	v_add_co_u32_e64 v33, s[8:9], s24, v0
	v_addc_co_u32_e64 v34, s[8:9], v4, v1, s[8:9]
	v_mul_lo_u32 v3, v3, s16
	v_mul_lo_u32 v4, v2, s17
	v_mad_u64_u32 v[0:1], s[8:9], v2, s16, 0
	v_add3_u32 v1, v1, v4, v3
	v_lshlrev_b64 v[0:1], 4, v[0:1]
	v_cmp_gt_i32_e32 vcc, s30, v2
	v_add_co_u32_e64 v18, s[8:9], v17, v0
	s_and_b64 s[10:11], s[2:3], vcc
	v_addc_co_u32_e64 v19, s[8:9], v32, v1, s[8:9]
	s_mov_b32 s6, 0
	s_branch .LBB22_7
.LBB22_6:                               ;   in Loop: Header=BB22_7 Depth=2
	s_or_b64 exec, exec, s[8:9]
	s_add_i32 s6, s6, 32
	s_cmp_ge_i32 s6, s29
	s_barrier
	s_cbranch_scc1 .LBB22_3
.LBB22_7:                               ;   Parent Loop BB22_4 Depth=1
                                        ; =>  This Inner Loop Header: Depth=2
	v_add_u32_e32 v0, s6, v27
	v_cndmask_b32_e64 v1, v0, v16, s[0:1]
	v_cndmask_b32_e64 v2, v16, v0, s[0:1]
	v_cmp_gt_i32_e64 s[8:9], v1, v2
	v_cndmask_b32_e64 v6, v16, v0, s[8:9]
	v_cndmask_b32_e64 v7, v0, v16, s[8:9]
	v_max_i32_e32 v0, v6, v7
	v_cmp_gt_i32_e64 s[8:9], s29, v0
	v_pk_mov_b32 v[0:1], 0, 0
	v_pk_mov_b32 v[2:3], v[0:1], v[0:1] op_sel:[0,1]
	v_pk_mov_b32 v[4:5], v[0:1], v[0:1] op_sel:[0,1]
	s_and_saveexec_b64 s[18:19], s[8:9]
	s_cbranch_execz .LBB22_9
; %bb.8:                                ;   in Loop: Header=BB22_7 Depth=2
	v_ashrrev_i32_e32 v2, 31, v7
	v_mul_lo_u32 v4, v7, s21
	v_mul_lo_u32 v5, v2, s20
	v_mad_u64_u32 v[2:3], s[8:9], v7, s20, 0
	v_add3_u32 v3, v3, v4, v5
	v_lshlrev_b64 v[2:3], 4, v[2:3]
	v_ashrrev_i32_e32 v7, 31, v6
	v_mov_b32_e32 v4, s23
	v_add_co_u32_e64 v5, s[8:9], s22, v2
	v_addc_co_u32_e64 v4, s[8:9], v4, v3, s[8:9]
	v_lshlrev_b64 v[2:3], 4, v[6:7]
	v_add_co_u32_e64 v2, s[8:9], v5, v2
	v_addc_co_u32_e64 v3, s[8:9], v4, v3, s[8:9]
	global_load_dwordx4 v[2:5], v[2:3], off
.LBB22_9:                               ;   in Loop: Header=BB22_7 Depth=2
	s_or_b64 exec, exec, s[18:19]
	s_waitcnt vmcnt(0)
	ds_write_b128 v29, v[2:5]
	v_add_u32_e32 v4, s6, v26
	v_cmp_gt_i32_e64 s[8:9], s29, v4
	s_and_b64 s[8:9], s[8:9], vcc
	v_pk_mov_b32 v[2:3], v[0:1], v[0:1] op_sel:[0,1]
	s_and_saveexec_b64 s[18:19], s[8:9]
	s_cbranch_execz .LBB22_11
; %bb.10:                               ;   in Loop: Header=BB22_7 Depth=2
	v_ashrrev_i32_e32 v5, 31, v4
	v_lshlrev_b64 v[0:1], 4, v[4:5]
	v_add_co_u32_e64 v0, s[8:9], v33, v0
	v_addc_co_u32_e64 v1, s[8:9], v34, v1, s[8:9]
	global_load_dwordx4 v[0:3], v[0:1], off
.LBB22_11:                              ;   in Loop: Header=BB22_7 Depth=2
	s_or_b64 exec, exec, s[18:19]
	s_waitcnt vmcnt(0)
	ds_write_b128 v31, v[0:3]
	s_waitcnt lgkmcnt(0)
	s_barrier
	s_and_saveexec_b64 s[8:9], s[10:11]
	s_cbranch_execz .LBB22_6
; %bb.12:                               ;   in Loop: Header=BB22_7 Depth=2
	ds_read_b128 v[0:3], v30
	ds_read_b128 v[4:7], v28
	ds_read_b128 v[8:11], v28 offset:16
	ds_read_b128 v[12:15], v28 offset:32
	;; [unrolled: 1-line block ×4, first 2 shown]
	s_waitcnt lgkmcnt(4)
	v_mul_f64 v[24:25], v[2:3], v[6:7]
	v_fma_f64 v[24:25], v[0:1], v[4:5], -v[24:25]
	v_mul_f64 v[0:1], v[0:1], v[6:7]
	v_fmac_f64_e32 v[0:1], v[2:3], v[4:5]
	v_add_f64 v[6:7], v[0:1], 0
	s_waitcnt lgkmcnt(0)
	v_mul_f64 v[0:1], v[38:39], v[10:11]
	v_add_f64 v[4:5], v[24:25], 0
	v_fma_f64 v[24:25], v[36:37], v[8:9], -v[0:1]
	ds_read_b128 v[0:3], v30 offset:1024
	v_mul_f64 v[10:11], v[36:37], v[10:11]
	v_fmac_f64_e32 v[10:11], v[38:39], v[8:9]
	v_add_f64 v[8:9], v[4:5], v[24:25]
	v_add_f64 v[10:11], v[6:7], v[10:11]
	ds_read_b128 v[4:7], v30 offset:1536
	s_waitcnt lgkmcnt(1)
	v_mul_f64 v[24:25], v[2:3], v[14:15]
	v_fma_f64 v[24:25], v[0:1], v[12:13], -v[24:25]
	v_mul_f64 v[0:1], v[0:1], v[14:15]
	v_fmac_f64_e32 v[0:1], v[2:3], v[12:13]
	v_add_f64 v[10:11], v[10:11], v[0:1]
	s_waitcnt lgkmcnt(0)
	v_mul_f64 v[0:1], v[6:7], v[22:23]
	v_mul_f64 v[14:15], v[4:5], v[22:23]
	v_add_f64 v[8:9], v[8:9], v[24:25]
	v_fma_f64 v[12:13], v[4:5], v[20:21], -v[0:1]
	v_fmac_f64_e32 v[14:15], v[6:7], v[20:21]
	ds_read_b128 v[0:3], v28 offset:64
	ds_read_b128 v[4:7], v30 offset:2048
	v_add_f64 v[20:21], v[8:9], v[12:13]
	v_add_f64 v[22:23], v[10:11], v[14:15]
	ds_read_b128 v[8:11], v30 offset:2560
	ds_read_b128 v[12:15], v28 offset:80
	s_waitcnt lgkmcnt(2)
	v_mul_f64 v[24:25], v[6:7], v[2:3]
	v_mul_f64 v[2:3], v[4:5], v[2:3]
	v_fma_f64 v[24:25], v[4:5], v[0:1], -v[24:25]
	v_fmac_f64_e32 v[2:3], v[6:7], v[0:1]
	s_waitcnt lgkmcnt(0)
	v_mul_f64 v[0:1], v[10:11], v[14:15]
	v_add_f64 v[20:21], v[20:21], v[24:25]
	v_fma_f64 v[24:25], v[8:9], v[12:13], -v[0:1]
	v_mul_f64 v[8:9], v[8:9], v[14:15]
	v_add_f64 v[22:23], v[22:23], v[2:3]
	v_fmac_f64_e32 v[8:9], v[10:11], v[12:13]
	ds_read_b128 v[0:3], v28 offset:96
	ds_read_b128 v[4:7], v30 offset:3072
	v_add_f64 v[22:23], v[22:23], v[8:9]
	ds_read_b128 v[8:11], v30 offset:3584
	ds_read_b128 v[12:15], v28 offset:112
	v_add_f64 v[20:21], v[20:21], v[24:25]
	s_waitcnt lgkmcnt(2)
	v_mul_f64 v[24:25], v[6:7], v[2:3]
	v_mul_f64 v[2:3], v[4:5], v[2:3]
	v_fma_f64 v[24:25], v[4:5], v[0:1], -v[24:25]
	v_fmac_f64_e32 v[2:3], v[6:7], v[0:1]
	s_waitcnt lgkmcnt(0)
	v_mul_f64 v[0:1], v[10:11], v[14:15]
	v_add_f64 v[20:21], v[20:21], v[24:25]
	v_fma_f64 v[24:25], v[8:9], v[12:13], -v[0:1]
	v_mul_f64 v[8:9], v[8:9], v[14:15]
	v_add_f64 v[22:23], v[22:23], v[2:3]
	v_fmac_f64_e32 v[8:9], v[10:11], v[12:13]
	ds_read_b128 v[0:3], v28 offset:128
	ds_read_b128 v[4:7], v30 offset:4096
	v_add_f64 v[22:23], v[22:23], v[8:9]
	ds_read_b128 v[8:11], v30 offset:4608
	ds_read_b128 v[12:15], v28 offset:144
	v_add_f64 v[20:21], v[20:21], v[24:25]
	;; [unrolled: 18-line block ×8, first 2 shown]
	s_waitcnt lgkmcnt(2)
	v_mul_f64 v[24:25], v[6:7], v[2:3]
	v_mul_f64 v[2:3], v[4:5], v[2:3]
	v_fma_f64 v[24:25], v[4:5], v[0:1], -v[24:25]
	v_fmac_f64_e32 v[2:3], v[6:7], v[0:1]
	s_waitcnt lgkmcnt(0)
	v_mul_f64 v[0:1], v[10:11], v[14:15]
	v_add_f64 v[20:21], v[20:21], v[24:25]
	v_fma_f64 v[24:25], v[8:9], v[12:13], -v[0:1]
	v_mul_f64 v[8:9], v[8:9], v[14:15]
	v_add_f64 v[22:23], v[22:23], v[2:3]
	v_fmac_f64_e32 v[8:9], v[10:11], v[12:13]
	ds_read_b128 v[0:3], v28 offset:352
	ds_read_b128 v[4:7], v30 offset:11264
	v_add_f64 v[22:23], v[22:23], v[8:9]
	ds_read_b128 v[8:11], v30 offset:11776
	ds_read_b128 v[12:15], v28 offset:368
	global_load_dwordx4 v[36:39], v[18:19], off
	v_add_f64 v[20:21], v[20:21], v[24:25]
	s_waitcnt lgkmcnt(2)
	v_mul_f64 v[24:25], v[6:7], v[2:3]
	v_mul_f64 v[2:3], v[4:5], v[2:3]
	v_fma_f64 v[24:25], v[4:5], v[0:1], -v[24:25]
	v_fmac_f64_e32 v[2:3], v[6:7], v[0:1]
	s_waitcnt lgkmcnt(0)
	v_mul_f64 v[0:1], v[10:11], v[14:15]
	v_add_f64 v[20:21], v[20:21], v[24:25]
	v_fma_f64 v[24:25], v[8:9], v[12:13], -v[0:1]
	v_mul_f64 v[8:9], v[8:9], v[14:15]
	v_add_f64 v[22:23], v[22:23], v[2:3]
	v_fmac_f64_e32 v[8:9], v[10:11], v[12:13]
	ds_read_b128 v[0:3], v28 offset:384
	ds_read_b128 v[4:7], v30 offset:12288
	v_add_f64 v[22:23], v[22:23], v[8:9]
	ds_read_b128 v[8:11], v30 offset:12800
	ds_read_b128 v[12:15], v28 offset:400
	v_add_f64 v[20:21], v[20:21], v[24:25]
	s_waitcnt lgkmcnt(2)
	v_mul_f64 v[24:25], v[6:7], v[2:3]
	v_mul_f64 v[2:3], v[4:5], v[2:3]
	v_fma_f64 v[24:25], v[4:5], v[0:1], -v[24:25]
	v_fmac_f64_e32 v[2:3], v[6:7], v[0:1]
	s_waitcnt lgkmcnt(0)
	v_mul_f64 v[0:1], v[10:11], v[14:15]
	v_add_f64 v[20:21], v[20:21], v[24:25]
	v_fma_f64 v[24:25], v[8:9], v[12:13], -v[0:1]
	v_mul_f64 v[8:9], v[8:9], v[14:15]
	v_add_f64 v[22:23], v[22:23], v[2:3]
	v_fmac_f64_e32 v[8:9], v[10:11], v[12:13]
	ds_read_b128 v[0:3], v28 offset:416
	ds_read_b128 v[4:7], v30 offset:13312
	v_add_f64 v[22:23], v[22:23], v[8:9]
	ds_read_b128 v[8:11], v30 offset:13824
	ds_read_b128 v[12:15], v28 offset:432
	;; [unrolled: 18-line block ×4, first 2 shown]
	v_add_f64 v[20:21], v[20:21], v[24:25]
	s_waitcnt lgkmcnt(2)
	v_mul_f64 v[24:25], v[6:7], v[2:3]
	v_mul_f64 v[2:3], v[4:5], v[2:3]
	v_fma_f64 v[24:25], v[4:5], v[0:1], -v[24:25]
	v_fmac_f64_e32 v[2:3], v[6:7], v[0:1]
	s_waitcnt lgkmcnt(0)
	v_mul_f64 v[4:5], v[10:11], v[14:15]
	v_mul_f64 v[6:7], v[8:9], v[14:15]
	v_add_f64 v[0:1], v[20:21], v[24:25]
	v_add_f64 v[2:3], v[22:23], v[2:3]
	v_fma_f64 v[4:5], v[8:9], v[12:13], -v[4:5]
	v_fmac_f64_e32 v[6:7], v[10:11], v[12:13]
	v_add_f64 v[0:1], v[0:1], v[4:5]
	v_add_f64 v[2:3], v[2:3], v[6:7]
	v_mul_f64 v[4:5], s[14:15], v[2:3]
	v_mul_f64 v[6:7], s[14:15], v[0:1]
	v_fma_f64 v[4:5], s[12:13], v[0:1], -v[4:5]
	v_fmac_f64_e32 v[6:7], s[12:13], v[2:3]
	s_waitcnt vmcnt(0)
	v_add_f64 v[0:1], v[36:37], v[4:5]
	v_add_f64 v[2:3], v[38:39], v[6:7]
	global_store_dwordx4 v[18:19], v[0:3], off
	s_branch .LBB22_6
.LBB22_13:
	s_endpgm
	.section	.rodata,"a",@progbits
	.p2align	6, 0x0
	.amdhsa_kernel _ZL24rocblas_symm_hemm_kernelILb0ELb0ELi32E19rocblas_complex_numIdEPKS1_PS1_EvbiiT2_T3_lllS6_lllT4_llli
		.amdhsa_group_segment_fixed_size 32768
		.amdhsa_private_segment_fixed_size 0
		.amdhsa_kernarg_size 392
		.amdhsa_user_sgpr_count 6
		.amdhsa_user_sgpr_private_segment_buffer 1
		.amdhsa_user_sgpr_dispatch_ptr 0
		.amdhsa_user_sgpr_queue_ptr 0
		.amdhsa_user_sgpr_kernarg_segment_ptr 1
		.amdhsa_user_sgpr_dispatch_id 0
		.amdhsa_user_sgpr_flat_scratch_init 0
		.amdhsa_user_sgpr_kernarg_preload_length 0
		.amdhsa_user_sgpr_kernarg_preload_offset 0
		.amdhsa_user_sgpr_private_segment_size 0
		.amdhsa_uses_dynamic_stack 0
		.amdhsa_system_sgpr_private_segment_wavefront_offset 0
		.amdhsa_system_sgpr_workgroup_id_x 1
		.amdhsa_system_sgpr_workgroup_id_y 1
		.amdhsa_system_sgpr_workgroup_id_z 1
		.amdhsa_system_sgpr_workgroup_info 0
		.amdhsa_system_vgpr_workitem_id 1
		.amdhsa_next_free_vgpr 40
		.amdhsa_next_free_sgpr 44
		.amdhsa_accum_offset 40
		.amdhsa_reserve_vcc 1
		.amdhsa_reserve_flat_scratch 0
		.amdhsa_float_round_mode_32 0
		.amdhsa_float_round_mode_16_64 0
		.amdhsa_float_denorm_mode_32 3
		.amdhsa_float_denorm_mode_16_64 3
		.amdhsa_dx10_clamp 1
		.amdhsa_ieee_mode 1
		.amdhsa_fp16_overflow 0
		.amdhsa_tg_split 0
		.amdhsa_exception_fp_ieee_invalid_op 0
		.amdhsa_exception_fp_denorm_src 0
		.amdhsa_exception_fp_ieee_div_zero 0
		.amdhsa_exception_fp_ieee_overflow 0
		.amdhsa_exception_fp_ieee_underflow 0
		.amdhsa_exception_fp_ieee_inexact 0
		.amdhsa_exception_int_div_zero 0
	.end_amdhsa_kernel
	.section	.text._ZL24rocblas_symm_hemm_kernelILb0ELb0ELi32E19rocblas_complex_numIdEPKS1_PS1_EvbiiT2_T3_lllS6_lllT4_llli,"axG",@progbits,_ZL24rocblas_symm_hemm_kernelILb0ELb0ELi32E19rocblas_complex_numIdEPKS1_PS1_EvbiiT2_T3_lllS6_lllT4_llli,comdat
.Lfunc_end22:
	.size	_ZL24rocblas_symm_hemm_kernelILb0ELb0ELi32E19rocblas_complex_numIdEPKS1_PS1_EvbiiT2_T3_lllS6_lllT4_llli, .Lfunc_end22-_ZL24rocblas_symm_hemm_kernelILb0ELb0ELi32E19rocblas_complex_numIdEPKS1_PS1_EvbiiT2_T3_lllS6_lllT4_llli
                                        ; -- End function
	.section	.AMDGPU.csdata,"",@progbits
; Kernel info:
; codeLenInByte = 2956
; NumSgprs: 48
; NumVgprs: 40
; NumAgprs: 0
; TotalNumVgprs: 40
; ScratchSize: 0
; MemoryBound: 1
; FloatMode: 240
; IeeeMode: 1
; LDSByteSize: 32768 bytes/workgroup (compile time only)
; SGPRBlocks: 5
; VGPRBlocks: 4
; NumSGPRsForWavesPerEU: 48
; NumVGPRsForWavesPerEU: 40
; AccumOffset: 40
; Occupancy: 8
; WaveLimiterHint : 0
; COMPUTE_PGM_RSRC2:SCRATCH_EN: 0
; COMPUTE_PGM_RSRC2:USER_SGPR: 6
; COMPUTE_PGM_RSRC2:TRAP_HANDLER: 0
; COMPUTE_PGM_RSRC2:TGID_X_EN: 1
; COMPUTE_PGM_RSRC2:TGID_Y_EN: 1
; COMPUTE_PGM_RSRC2:TGID_Z_EN: 1
; COMPUTE_PGM_RSRC2:TIDIG_COMP_CNT: 1
; COMPUTE_PGM_RSRC3_GFX90A:ACCUM_OFFSET: 9
; COMPUTE_PGM_RSRC3_GFX90A:TG_SPLIT: 0
	.section	.text._ZL24rocblas_symm_hemm_kernelILb0ELb1ELi32E19rocblas_complex_numIdEPKS1_PS1_EvbiiT2_T3_lllS6_lllT4_llli,"axG",@progbits,_ZL24rocblas_symm_hemm_kernelILb0ELb1ELi32E19rocblas_complex_numIdEPKS1_PS1_EvbiiT2_T3_lllS6_lllT4_llli,comdat
	.globl	_ZL24rocblas_symm_hemm_kernelILb0ELb1ELi32E19rocblas_complex_numIdEPKS1_PS1_EvbiiT2_T3_lllS6_lllT4_llli ; -- Begin function _ZL24rocblas_symm_hemm_kernelILb0ELb1ELi32E19rocblas_complex_numIdEPKS1_PS1_EvbiiT2_T3_lllS6_lllT4_llli
	.p2align	8
	.type	_ZL24rocblas_symm_hemm_kernelILb0ELb1ELi32E19rocblas_complex_numIdEPKS1_PS1_EvbiiT2_T3_lllS6_lllT4_llli,@function
_ZL24rocblas_symm_hemm_kernelILb0ELb1ELi32E19rocblas_complex_numIdEPKS1_PS1_EvbiiT2_T3_lllS6_lllT4_llli: ; @_ZL24rocblas_symm_hemm_kernelILb0ELb1ELi32E19rocblas_complex_numIdEPKS1_PS1_EvbiiT2_T3_lllS6_lllT4_llli
; %bb.0:
	s_load_dwordx16 s[12:27], s[4:5], 0x10
	s_waitcnt lgkmcnt(0)
	v_cmp_eq_f64_e64 s[0:1], s[12:13], 0
	v_cmp_eq_f64_e64 s[2:3], s[14:15], 0
	s_and_b64 s[0:1], s[0:1], s[2:3]
	s_and_b64 vcc, exec, s[0:1]
	s_cbranch_vccnz .LBB23_13
; %bb.1:
	s_load_dwordx4 s[28:31], s[4:5], 0x0
	s_waitcnt lgkmcnt(0)
	s_add_i32 s0, s30, -1
	s_ashr_i32 s1, s0, 31
	s_lshr_b32 s1, s1, 27
	s_add_i32 s0, s0, s1
	s_ashr_i32 s31, s0, 5
	s_cmp_gt_i32 s7, s31
	s_cbranch_scc1 .LBB23_13
; %bb.2:
	s_mul_i32 s0, s8, s23
	s_mul_hi_u32 s1, s8, s22
	s_add_i32 s1, s1, s0
	s_mul_i32 s0, s8, s22
	s_lshl_b64 s[0:1], s[0:1], 4
	s_add_u32 s2, s16, s0
	s_addc_u32 s3, s17, s1
	s_lshl_b64 s[0:1], s[18:19], 4
	s_load_dwordx4 s[16:19], s[4:5], 0x70
	s_add_u32 s22, s2, s0
	s_addc_u32 s23, s3, s1
	s_bitcmp1_b32 s28, 0
	s_load_dwordx8 s[36:43], s[4:5], 0x50
	s_load_dword s28, s[4:5], 0x8c
	s_waitcnt lgkmcnt(0)
	s_mul_i32 s2, s8, s19
	s_mul_hi_u32 s3, s8, s18
	s_cselect_b64 s[0:1], -1, 0
	s_add_i32 s3, s3, s2
	s_mul_i32 s2, s8, s18
	s_lshl_b64 s[2:3], s[2:3], 4
	s_add_u32 s4, s40, s2
	s_addc_u32 s5, s41, s3
	s_lshl_b64 s[2:3], s[42:43], 4
	s_add_u32 s4, s4, s2
	s_addc_u32 s5, s5, s3
	s_mul_i32 s2, s8, s39
	s_mul_hi_u32 s3, s8, s38
	s_add_i32 s3, s3, s2
	s_mul_i32 s2, s8, s38
	s_lshl_b64 s[2:3], s[2:3], 4
	s_add_u32 s8, s24, s2
	v_and_b32_e32 v24, 0x3ff, v0
	s_addc_u32 s9, s25, s3
	s_lshl_b64 s[2:3], s[26:27], 4
	v_lshl_add_u32 v2, s6, 5, v24
	s_add_u32 s8, s8, s2
	v_ashrrev_i32_e32 v3, 31, v2
	s_addc_u32 s9, s9, s3
	v_bfe_u32 v25, v0, 10, 10
	v_lshlrev_b64 v[0:1], 4, v[2:3]
	v_cmp_gt_i32_e64 s[2:3], s29, v2
	v_mov_b32_e32 v2, s9
	v_add_co_u32_e32 v26, vcc, s8, v0
	s_cmp_gt_i32 s30, 0
	v_addc_co_u32_e32 v27, vcc, v2, v1, vcc
	v_lshlrev_b32_e32 v2, 4, v25
	v_lshlrev_b32_e32 v28, 9, v24
	v_add_u32_e32 v29, v28, v2
	v_or_b32_e32 v30, 0x4000, v2
	v_mov_b32_e32 v2, s5
	v_add_co_u32_e32 v32, vcc, s4, v0
	s_cselect_b64 s[4:5], -1, 0
	v_cndmask_b32_e64 v0, 0, 1, s[4:5]
	v_add_u32_e32 v31, v30, v28
	v_addc_co_u32_e32 v33, vcc, v2, v1, vcc
	v_cmp_ne_u32_e64 s[4:5], 1, v0
	s_branch .LBB23_4
.LBB23_3:                               ;   in Loop: Header=BB23_4 Depth=1
	s_add_i32 s7, s7, s28
	s_cmp_gt_i32 s7, s31
	s_cbranch_scc1 .LBB23_13
.LBB23_4:                               ; =>This Loop Header: Depth=1
                                        ;     Child Loop BB23_7 Depth 2
	s_and_b64 vcc, exec, s[4:5]
	s_cbranch_vccnz .LBB23_3
; %bb.5:                                ;   in Loop: Header=BB23_4 Depth=1
	v_lshl_add_u32 v34, s7, 5, v25
	v_ashrrev_i32_e32 v0, 31, v34
	v_mul_lo_u32 v2, v0, s16
	v_mul_lo_u32 v3, v34, s17
	v_mad_u64_u32 v[0:1], s[10:11], v34, s16, 0
	v_add3_u32 v1, v1, v3, v2
	v_cmp_gt_i32_e32 vcc, s30, v34
	v_lshlrev_b64 v[0:1], 4, v[0:1]
	s_and_b64 s[8:9], s[2:3], vcc
	v_add_co_u32_e32 v16, vcc, v32, v0
	v_addc_co_u32_e32 v17, vcc, v33, v1, vcc
	s_mov_b32 s6, 0
	s_branch .LBB23_7
.LBB23_6:                               ;   in Loop: Header=BB23_7 Depth=2
	s_or_b64 exec, exec, s[10:11]
	s_add_i32 s6, s6, 32
	s_cmp_ge_i32 s6, s30
	s_barrier
	s_cbranch_scc1 .LBB23_3
.LBB23_7:                               ;   Parent Loop BB23_4 Depth=1
                                        ; =>  This Inner Loop Header: Depth=2
	v_add_u32_e32 v6, s6, v25
	v_cmp_gt_i32_e32 vcc, s30, v6
	v_pk_mov_b32 v[0:1], 0, 0
	s_and_b64 s[18:19], s[2:3], vcc
	v_pk_mov_b32 v[2:3], v[0:1], v[0:1] op_sel:[0,1]
	v_pk_mov_b32 v[4:5], v[0:1], v[0:1] op_sel:[0,1]
	s_and_saveexec_b64 s[10:11], s[18:19]
	s_cbranch_execz .LBB23_9
; %bb.8:                                ;   in Loop: Header=BB23_7 Depth=2
	v_ashrrev_i32_e32 v2, 31, v6
	v_mul_lo_u32 v4, v6, s37
	v_mul_lo_u32 v5, v2, s36
	v_mad_u64_u32 v[2:3], s[18:19], v6, s36, 0
	v_add3_u32 v3, v3, v4, v5
	v_lshlrev_b64 v[2:3], 4, v[2:3]
	v_add_co_u32_e32 v2, vcc, v26, v2
	v_addc_co_u32_e32 v3, vcc, v27, v3, vcc
	global_load_dwordx4 v[2:5], v[2:3], off
.LBB23_9:                               ;   in Loop: Header=BB23_7 Depth=2
	s_or_b64 exec, exec, s[10:11]
	s_waitcnt vmcnt(0)
	ds_write_b128 v29, v[2:5]
	v_add_u32_e32 v2, s6, v24
	v_cndmask_b32_e64 v3, v34, v2, s[0:1]
	v_cndmask_b32_e64 v4, v2, v34, s[0:1]
	v_cmp_gt_i32_e32 vcc, v3, v4
	v_cndmask_b32_e32 v4, v2, v34, vcc
	v_cndmask_b32_e32 v5, v34, v2, vcc
	v_max_i32_e32 v2, v4, v5
	v_cmp_gt_i32_e32 vcc, s30, v2
	v_pk_mov_b32 v[2:3], v[0:1], v[0:1] op_sel:[0,1]
	s_and_saveexec_b64 s[10:11], vcc
	s_cbranch_execz .LBB23_11
; %bb.10:                               ;   in Loop: Header=BB23_7 Depth=2
	v_ashrrev_i32_e32 v0, 31, v5
	v_mul_lo_u32 v2, v5, s21
	v_mul_lo_u32 v3, v0, s20
	v_mad_u64_u32 v[0:1], s[18:19], v5, s20, 0
	v_add3_u32 v1, v1, v2, v3
	v_lshlrev_b64 v[0:1], 4, v[0:1]
	v_ashrrev_i32_e32 v5, 31, v4
	v_mov_b32_e32 v2, s23
	v_add_co_u32_e32 v3, vcc, s22, v0
	v_addc_co_u32_e32 v2, vcc, v2, v1, vcc
	v_lshlrev_b64 v[0:1], 4, v[4:5]
	v_add_co_u32_e32 v0, vcc, v3, v0
	v_addc_co_u32_e32 v1, vcc, v2, v1, vcc
	global_load_dwordx4 v[0:3], v[0:1], off
.LBB23_11:                              ;   in Loop: Header=BB23_7 Depth=2
	s_or_b64 exec, exec, s[10:11]
	s_waitcnt vmcnt(0)
	ds_write_b128 v31, v[0:3]
	s_waitcnt lgkmcnt(0)
	s_barrier
	s_and_saveexec_b64 s[10:11], s[8:9]
	s_cbranch_execz .LBB23_6
; %bb.12:                               ;   in Loop: Header=BB23_7 Depth=2
	ds_read_b128 v[0:3], v30
	ds_read_b128 v[4:7], v28
	ds_read_b128 v[8:11], v28 offset:16
	ds_read_b128 v[12:15], v28 offset:32
	;; [unrolled: 1-line block ×4, first 2 shown]
	s_waitcnt lgkmcnt(4)
	v_mul_f64 v[22:23], v[2:3], v[6:7]
	v_fma_f64 v[22:23], v[0:1], v[4:5], -v[22:23]
	v_mul_f64 v[0:1], v[0:1], v[6:7]
	v_fmac_f64_e32 v[0:1], v[2:3], v[4:5]
	v_add_f64 v[6:7], v[0:1], 0
	s_waitcnt lgkmcnt(0)
	v_mul_f64 v[0:1], v[38:39], v[10:11]
	v_add_f64 v[4:5], v[22:23], 0
	v_fma_f64 v[22:23], v[36:37], v[8:9], -v[0:1]
	ds_read_b128 v[0:3], v30 offset:1024
	v_mul_f64 v[10:11], v[36:37], v[10:11]
	v_fmac_f64_e32 v[10:11], v[38:39], v[8:9]
	v_add_f64 v[8:9], v[4:5], v[22:23]
	v_add_f64 v[10:11], v[6:7], v[10:11]
	ds_read_b128 v[4:7], v30 offset:1536
	s_waitcnt lgkmcnt(1)
	v_mul_f64 v[22:23], v[2:3], v[14:15]
	v_fma_f64 v[22:23], v[0:1], v[12:13], -v[22:23]
	v_mul_f64 v[0:1], v[0:1], v[14:15]
	v_fmac_f64_e32 v[0:1], v[2:3], v[12:13]
	v_add_f64 v[10:11], v[10:11], v[0:1]
	s_waitcnt lgkmcnt(0)
	v_mul_f64 v[0:1], v[6:7], v[20:21]
	v_mul_f64 v[14:15], v[4:5], v[20:21]
	v_add_f64 v[8:9], v[8:9], v[22:23]
	v_fma_f64 v[12:13], v[4:5], v[18:19], -v[0:1]
	v_fmac_f64_e32 v[14:15], v[6:7], v[18:19]
	ds_read_b128 v[0:3], v28 offset:64
	ds_read_b128 v[4:7], v30 offset:2048
	v_add_f64 v[18:19], v[8:9], v[12:13]
	v_add_f64 v[20:21], v[10:11], v[14:15]
	ds_read_b128 v[8:11], v30 offset:2560
	ds_read_b128 v[12:15], v28 offset:80
	s_waitcnt lgkmcnt(2)
	v_mul_f64 v[22:23], v[6:7], v[2:3]
	v_mul_f64 v[2:3], v[4:5], v[2:3]
	v_fma_f64 v[22:23], v[4:5], v[0:1], -v[22:23]
	v_fmac_f64_e32 v[2:3], v[6:7], v[0:1]
	s_waitcnt lgkmcnt(0)
	v_mul_f64 v[0:1], v[10:11], v[14:15]
	v_add_f64 v[18:19], v[18:19], v[22:23]
	v_fma_f64 v[22:23], v[8:9], v[12:13], -v[0:1]
	v_mul_f64 v[8:9], v[8:9], v[14:15]
	v_add_f64 v[20:21], v[20:21], v[2:3]
	v_fmac_f64_e32 v[8:9], v[10:11], v[12:13]
	ds_read_b128 v[0:3], v28 offset:96
	ds_read_b128 v[4:7], v30 offset:3072
	v_add_f64 v[20:21], v[20:21], v[8:9]
	ds_read_b128 v[8:11], v30 offset:3584
	ds_read_b128 v[12:15], v28 offset:112
	v_add_f64 v[18:19], v[18:19], v[22:23]
	s_waitcnt lgkmcnt(2)
	v_mul_f64 v[22:23], v[6:7], v[2:3]
	v_mul_f64 v[2:3], v[4:5], v[2:3]
	v_fma_f64 v[22:23], v[4:5], v[0:1], -v[22:23]
	v_fmac_f64_e32 v[2:3], v[6:7], v[0:1]
	s_waitcnt lgkmcnt(0)
	v_mul_f64 v[0:1], v[10:11], v[14:15]
	v_add_f64 v[18:19], v[18:19], v[22:23]
	v_fma_f64 v[22:23], v[8:9], v[12:13], -v[0:1]
	v_mul_f64 v[8:9], v[8:9], v[14:15]
	v_add_f64 v[20:21], v[20:21], v[2:3]
	v_fmac_f64_e32 v[8:9], v[10:11], v[12:13]
	ds_read_b128 v[0:3], v28 offset:128
	ds_read_b128 v[4:7], v30 offset:4096
	v_add_f64 v[20:21], v[20:21], v[8:9]
	ds_read_b128 v[8:11], v30 offset:4608
	ds_read_b128 v[12:15], v28 offset:144
	v_add_f64 v[18:19], v[18:19], v[22:23]
	;; [unrolled: 18-line block ×8, first 2 shown]
	s_waitcnt lgkmcnt(2)
	v_mul_f64 v[22:23], v[6:7], v[2:3]
	v_mul_f64 v[2:3], v[4:5], v[2:3]
	v_fma_f64 v[22:23], v[4:5], v[0:1], -v[22:23]
	v_fmac_f64_e32 v[2:3], v[6:7], v[0:1]
	s_waitcnt lgkmcnt(0)
	v_mul_f64 v[0:1], v[10:11], v[14:15]
	v_add_f64 v[18:19], v[18:19], v[22:23]
	v_fma_f64 v[22:23], v[8:9], v[12:13], -v[0:1]
	v_mul_f64 v[8:9], v[8:9], v[14:15]
	v_add_f64 v[20:21], v[20:21], v[2:3]
	v_fmac_f64_e32 v[8:9], v[10:11], v[12:13]
	ds_read_b128 v[0:3], v28 offset:352
	ds_read_b128 v[4:7], v30 offset:11264
	v_add_f64 v[20:21], v[20:21], v[8:9]
	ds_read_b128 v[8:11], v30 offset:11776
	ds_read_b128 v[12:15], v28 offset:368
	global_load_dwordx4 v[36:39], v[16:17], off
	v_add_f64 v[18:19], v[18:19], v[22:23]
	s_waitcnt lgkmcnt(2)
	v_mul_f64 v[22:23], v[6:7], v[2:3]
	v_mul_f64 v[2:3], v[4:5], v[2:3]
	v_fma_f64 v[22:23], v[4:5], v[0:1], -v[22:23]
	v_fmac_f64_e32 v[2:3], v[6:7], v[0:1]
	s_waitcnt lgkmcnt(0)
	v_mul_f64 v[0:1], v[10:11], v[14:15]
	v_add_f64 v[18:19], v[18:19], v[22:23]
	v_fma_f64 v[22:23], v[8:9], v[12:13], -v[0:1]
	v_mul_f64 v[8:9], v[8:9], v[14:15]
	v_add_f64 v[20:21], v[20:21], v[2:3]
	v_fmac_f64_e32 v[8:9], v[10:11], v[12:13]
	ds_read_b128 v[0:3], v28 offset:384
	ds_read_b128 v[4:7], v30 offset:12288
	v_add_f64 v[20:21], v[20:21], v[8:9]
	ds_read_b128 v[8:11], v30 offset:12800
	ds_read_b128 v[12:15], v28 offset:400
	v_add_f64 v[18:19], v[18:19], v[22:23]
	s_waitcnt lgkmcnt(2)
	v_mul_f64 v[22:23], v[6:7], v[2:3]
	v_mul_f64 v[2:3], v[4:5], v[2:3]
	v_fma_f64 v[22:23], v[4:5], v[0:1], -v[22:23]
	v_fmac_f64_e32 v[2:3], v[6:7], v[0:1]
	s_waitcnt lgkmcnt(0)
	v_mul_f64 v[0:1], v[10:11], v[14:15]
	v_add_f64 v[18:19], v[18:19], v[22:23]
	v_fma_f64 v[22:23], v[8:9], v[12:13], -v[0:1]
	v_mul_f64 v[8:9], v[8:9], v[14:15]
	v_add_f64 v[20:21], v[20:21], v[2:3]
	v_fmac_f64_e32 v[8:9], v[10:11], v[12:13]
	ds_read_b128 v[0:3], v28 offset:416
	ds_read_b128 v[4:7], v30 offset:13312
	v_add_f64 v[20:21], v[20:21], v[8:9]
	ds_read_b128 v[8:11], v30 offset:13824
	ds_read_b128 v[12:15], v28 offset:432
	;; [unrolled: 18-line block ×4, first 2 shown]
	v_add_f64 v[18:19], v[18:19], v[22:23]
	s_waitcnt lgkmcnt(2)
	v_mul_f64 v[22:23], v[6:7], v[2:3]
	v_mul_f64 v[2:3], v[4:5], v[2:3]
	v_fma_f64 v[22:23], v[4:5], v[0:1], -v[22:23]
	v_fmac_f64_e32 v[2:3], v[6:7], v[0:1]
	s_waitcnt lgkmcnt(0)
	v_mul_f64 v[4:5], v[10:11], v[14:15]
	v_mul_f64 v[6:7], v[8:9], v[14:15]
	v_add_f64 v[0:1], v[18:19], v[22:23]
	v_add_f64 v[2:3], v[20:21], v[2:3]
	v_fma_f64 v[4:5], v[8:9], v[12:13], -v[4:5]
	v_fmac_f64_e32 v[6:7], v[10:11], v[12:13]
	v_add_f64 v[0:1], v[0:1], v[4:5]
	v_add_f64 v[2:3], v[2:3], v[6:7]
	v_mul_f64 v[4:5], s[14:15], v[2:3]
	v_mul_f64 v[6:7], s[14:15], v[0:1]
	v_fma_f64 v[4:5], s[12:13], v[0:1], -v[4:5]
	v_fmac_f64_e32 v[6:7], s[12:13], v[2:3]
	s_waitcnt vmcnt(0)
	v_add_f64 v[0:1], v[36:37], v[4:5]
	v_add_f64 v[2:3], v[38:39], v[6:7]
	global_store_dwordx4 v[16:17], v[0:3], off
	s_branch .LBB23_6
.LBB23_13:
	s_endpgm
	.section	.rodata,"a",@progbits
	.p2align	6, 0x0
	.amdhsa_kernel _ZL24rocblas_symm_hemm_kernelILb0ELb1ELi32E19rocblas_complex_numIdEPKS1_PS1_EvbiiT2_T3_lllS6_lllT4_llli
		.amdhsa_group_segment_fixed_size 32768
		.amdhsa_private_segment_fixed_size 0
		.amdhsa_kernarg_size 392
		.amdhsa_user_sgpr_count 6
		.amdhsa_user_sgpr_private_segment_buffer 1
		.amdhsa_user_sgpr_dispatch_ptr 0
		.amdhsa_user_sgpr_queue_ptr 0
		.amdhsa_user_sgpr_kernarg_segment_ptr 1
		.amdhsa_user_sgpr_dispatch_id 0
		.amdhsa_user_sgpr_flat_scratch_init 0
		.amdhsa_user_sgpr_kernarg_preload_length 0
		.amdhsa_user_sgpr_kernarg_preload_offset 0
		.amdhsa_user_sgpr_private_segment_size 0
		.amdhsa_uses_dynamic_stack 0
		.amdhsa_system_sgpr_private_segment_wavefront_offset 0
		.amdhsa_system_sgpr_workgroup_id_x 1
		.amdhsa_system_sgpr_workgroup_id_y 1
		.amdhsa_system_sgpr_workgroup_id_z 1
		.amdhsa_system_sgpr_workgroup_info 0
		.amdhsa_system_vgpr_workitem_id 1
		.amdhsa_next_free_vgpr 40
		.amdhsa_next_free_sgpr 44
		.amdhsa_accum_offset 40
		.amdhsa_reserve_vcc 1
		.amdhsa_reserve_flat_scratch 0
		.amdhsa_float_round_mode_32 0
		.amdhsa_float_round_mode_16_64 0
		.amdhsa_float_denorm_mode_32 3
		.amdhsa_float_denorm_mode_16_64 3
		.amdhsa_dx10_clamp 1
		.amdhsa_ieee_mode 1
		.amdhsa_fp16_overflow 0
		.amdhsa_tg_split 0
		.amdhsa_exception_fp_ieee_invalid_op 0
		.amdhsa_exception_fp_denorm_src 0
		.amdhsa_exception_fp_ieee_div_zero 0
		.amdhsa_exception_fp_ieee_overflow 0
		.amdhsa_exception_fp_ieee_underflow 0
		.amdhsa_exception_fp_ieee_inexact 0
		.amdhsa_exception_int_div_zero 0
	.end_amdhsa_kernel
	.section	.text._ZL24rocblas_symm_hemm_kernelILb0ELb1ELi32E19rocblas_complex_numIdEPKS1_PS1_EvbiiT2_T3_lllS6_lllT4_llli,"axG",@progbits,_ZL24rocblas_symm_hemm_kernelILb0ELb1ELi32E19rocblas_complex_numIdEPKS1_PS1_EvbiiT2_T3_lllS6_lllT4_llli,comdat
.Lfunc_end23:
	.size	_ZL24rocblas_symm_hemm_kernelILb0ELb1ELi32E19rocblas_complex_numIdEPKS1_PS1_EvbiiT2_T3_lllS6_lllT4_llli, .Lfunc_end23-_ZL24rocblas_symm_hemm_kernelILb0ELb1ELi32E19rocblas_complex_numIdEPKS1_PS1_EvbiiT2_T3_lllS6_lllT4_llli
                                        ; -- End function
	.section	.AMDGPU.csdata,"",@progbits
; Kernel info:
; codeLenInByte = 2884
; NumSgprs: 48
; NumVgprs: 40
; NumAgprs: 0
; TotalNumVgprs: 40
; ScratchSize: 0
; MemoryBound: 1
; FloatMode: 240
; IeeeMode: 1
; LDSByteSize: 32768 bytes/workgroup (compile time only)
; SGPRBlocks: 5
; VGPRBlocks: 4
; NumSGPRsForWavesPerEU: 48
; NumVGPRsForWavesPerEU: 40
; AccumOffset: 40
; Occupancy: 8
; WaveLimiterHint : 0
; COMPUTE_PGM_RSRC2:SCRATCH_EN: 0
; COMPUTE_PGM_RSRC2:USER_SGPR: 6
; COMPUTE_PGM_RSRC2:TRAP_HANDLER: 0
; COMPUTE_PGM_RSRC2:TGID_X_EN: 1
; COMPUTE_PGM_RSRC2:TGID_Y_EN: 1
; COMPUTE_PGM_RSRC2:TGID_Z_EN: 1
; COMPUTE_PGM_RSRC2:TIDIG_COMP_CNT: 1
; COMPUTE_PGM_RSRC3_GFX90A:ACCUM_OFFSET: 9
; COMPUTE_PGM_RSRC3_GFX90A:TG_SPLIT: 0
	.section	.text._ZL24rocblas_symm_hemm_kernelILb1ELb0ELi32EPK19rocblas_complex_numIfES3_PS1_EvbiiT2_T3_lllS6_lllT4_llli,"axG",@progbits,_ZL24rocblas_symm_hemm_kernelILb1ELb0ELi32EPK19rocblas_complex_numIfES3_PS1_EvbiiT2_T3_lllS6_lllT4_llli,comdat
	.globl	_ZL24rocblas_symm_hemm_kernelILb1ELb0ELi32EPK19rocblas_complex_numIfES3_PS1_EvbiiT2_T3_lllS6_lllT4_llli ; -- Begin function _ZL24rocblas_symm_hemm_kernelILb1ELb0ELi32EPK19rocblas_complex_numIfES3_PS1_EvbiiT2_T3_lllS6_lllT4_llli
	.p2align	8
	.type	_ZL24rocblas_symm_hemm_kernelILb1ELb0ELi32EPK19rocblas_complex_numIfES3_PS1_EvbiiT2_T3_lllS6_lllT4_llli,@function
_ZL24rocblas_symm_hemm_kernelILb1ELb0ELi32EPK19rocblas_complex_numIfES3_PS1_EvbiiT2_T3_lllS6_lllT4_llli: ; @_ZL24rocblas_symm_hemm_kernelILb1ELb0ELi32EPK19rocblas_complex_numIfES3_PS1_EvbiiT2_T3_lllS6_lllT4_llli
; %bb.0:
	s_load_dwordx16 s[12:27], s[4:5], 0x10
	s_waitcnt lgkmcnt(0)
	s_load_dwordx2 s[10:11], s[12:13], 0x0
	s_waitcnt lgkmcnt(0)
	v_cmp_eq_f32_e64 s[0:1], s10, 0
	v_cmp_eq_f32_e64 s[2:3], s11, 0
	s_and_b64 s[0:1], s[0:1], s[2:3]
	s_and_b64 vcc, exec, s[0:1]
	s_cbranch_vccnz .LBB24_21
; %bb.1:
	s_load_dwordx4 s[28:31], s[4:5], 0x0
	s_waitcnt lgkmcnt(0)
	s_add_i32 s0, s30, -1
	s_ashr_i32 s1, s0, 31
	s_lshr_b32 s1, s1, 27
	s_add_i32 s0, s0, s1
	s_ashr_i32 s31, s0, 5
	s_cmp_gt_i32 s7, s31
	s_cbranch_scc1 .LBB24_21
; %bb.2:
	s_load_dwordx8 s[36:43], s[4:5], 0x50
	v_and_b32_e32 v14, 0x3ff, v0
	v_lshl_add_u32 v8, s6, 5, v14
	v_ashrrev_i32_e32 v9, 31, v8
	v_bfe_u32 v15, v0, 10, 10
	s_waitcnt lgkmcnt(0)
	s_mul_i32 s1, s8, s37
	s_mul_hi_u32 s2, s8, s36
	s_mul_i32 s0, s8, s36
	s_add_i32 s1, s2, s1
	s_lshl_b64 s[0:1], s[0:1], 3
	s_add_u32 s2, s22, s0
	s_addc_u32 s9, s23, s1
	s_lshl_b64 s[0:1], s[24:25], 3
	s_add_u32 s22, s2, s0
	s_load_dwordx2 s[2:3], s[4:5], 0x70
	s_load_dword s24, s[4:5], 0x84
	s_addc_u32 s23, s9, s1
	s_bitcmp1_b32 s28, 0
	s_cselect_b64 s[0:1], -1, 0
	s_waitcnt lgkmcnt(0)
	s_mul_i32 s3, s8, s3
	s_mul_hi_u32 s4, s8, s2
	s_add_i32 s3, s4, s3
	s_mul_i32 s2, s8, s2
	s_lshl_b64 s[2:3], s[2:3], 3
	s_add_u32 s4, s38, s2
	s_addc_u32 s5, s39, s3
	s_lshl_b64 s[2:3], s[40:41], 3
	s_add_u32 s4, s4, s2
	s_addc_u32 s5, s5, s3
	s_mul_i32 s2, s8, s21
	s_mul_hi_u32 s3, s8, s20
	s_add_i32 s3, s3, s2
	s_mul_i32 s2, s8, s20
	s_lshl_b64 s[2:3], s[2:3], 3
	s_add_u32 s8, s14, s2
	s_addc_u32 s9, s15, s3
	s_lshl_b64 s[2:3], s[16:17], 3
	s_add_u32 s8, s8, s2
	s_addc_u32 s9, s9, s3
	v_lshlrev_b64 v[0:1], 3, v[8:9]
	v_mov_b32_e32 v2, s9
	v_add_co_u32_e32 v16, vcc, s8, v0
	v_addc_co_u32_e32 v17, vcc, v2, v1, vcc
	v_mul_lo_u32 v4, v9, s18
	v_mul_lo_u32 v5, v8, s19
	v_mad_u64_u32 v[2:3], s[2:3], v8, s18, 0
	v_add3_u32 v3, v3, v5, v4
	v_lshlrev_b64 v[2:3], 3, v[2:3]
	v_mov_b32_e32 v4, s9
	v_add_co_u32_e32 v9, vcc, s8, v2
	v_addc_co_u32_e32 v18, vcc, v4, v3, vcc
	v_lshlrev_b32_e32 v4, 3, v15
	v_lshlrev_b32_e32 v19, 8, v14
	v_add_u32_e32 v20, v19, v4
	v_or_b32_e32 v21, 0x2000, v4
	v_mov_b32_e32 v4, s5
	v_add_co_u32_e32 v23, vcc, s4, v0
	v_addc_co_u32_e32 v24, vcc, v4, v1, vcc
	s_cmp_gt_i32 s29, 0
	v_add_co_u32_e32 v10, vcc, v16, v2
	v_add_u32_e32 v22, v21, v19
	v_cmp_gt_i32_e64 s[2:3], s29, v8
	v_addc_co_u32_e32 v11, vcc, v17, v3, vcc
	s_cselect_b64 s[12:13], -1, 0
	s_branch .LBB24_4
.LBB24_3:                               ;   in Loop: Header=BB24_4 Depth=1
	s_add_i32 s7, s7, s24
	s_cmp_gt_i32 s7, s31
	s_cbranch_scc1 .LBB24_21
.LBB24_4:                               ; =>This Loop Header: Depth=1
                                        ;     Child Loop BB24_7 Depth 2
	s_andn2_b64 vcc, exec, s[12:13]
	s_cbranch_vccnz .LBB24_3
; %bb.5:                                ;   in Loop: Header=BB24_4 Depth=1
	v_lshl_add_u32 v2, s7, 5, v15
	v_ashrrev_i32_e32 v3, 31, v2
	v_mul_lo_u32 v4, v3, s26
	v_mul_lo_u32 v5, v2, s27
	v_mad_u64_u32 v[0:1], s[4:5], v2, s26, 0
	v_add3_u32 v1, v1, v5, v4
	v_lshlrev_b64 v[0:1], 3, v[0:1]
	v_mov_b32_e32 v4, s23
	v_add_co_u32_e64 v25, s[4:5], s22, v0
	v_addc_co_u32_e64 v26, s[4:5], v4, v1, s[4:5]
	v_mul_lo_u32 v3, v3, s42
	v_mul_lo_u32 v4, v2, s43
	v_mad_u64_u32 v[0:1], s[4:5], v2, s42, 0
	v_add3_u32 v1, v1, v4, v3
	v_lshlrev_b64 v[0:1], 3, v[0:1]
	v_cmp_gt_i32_e32 vcc, s30, v2
	v_add_co_u32_e64 v12, s[4:5], v23, v0
	s_and_b64 s[14:15], s[2:3], vcc
	v_addc_co_u32_e64 v13, s[4:5], v24, v1, s[4:5]
	s_mov_b32 s6, 0
	s_branch .LBB24_7
.LBB24_6:                               ;   in Loop: Header=BB24_7 Depth=2
	s_or_b64 exec, exec, s[4:5]
	s_add_i32 s6, s6, 32
	s_cmp_ge_i32 s6, s29
	s_barrier
	s_cbranch_scc1 .LBB24_3
.LBB24_7:                               ;   Parent Loop BB24_4 Depth=1
                                        ; =>  This Inner Loop Header: Depth=2
	v_add_u32_e32 v4, s6, v15
	v_cndmask_b32_e64 v0, v4, v8, s[0:1]
	v_cndmask_b32_e64 v1, v8, v4, s[0:1]
	v_cmp_gt_i32_e64 s[8:9], v0, v1
	v_cmp_le_i32_e64 s[4:5], v0, v1
	v_cndmask_b32_e64 v0, v8, v4, s[8:9]
	v_cndmask_b32_e64 v1, v4, v8, s[8:9]
	v_max_i32_e32 v0, v0, v1
	v_cmp_gt_i32_e64 s[8:9], s29, v0
	v_mov_b32_e32 v0, 0
	v_mov_b32_e32 v2, 0
	;; [unrolled: 1-line block ×3, first 2 shown]
	s_and_saveexec_b64 s[16:17], s[8:9]
	s_cbranch_execz .LBB24_17
; %bb.8:                                ;   in Loop: Header=BB24_7 Depth=2
                                        ; implicit-def: $vgpr3
	s_and_saveexec_b64 s[8:9], s[4:5]
	s_xor_b64 s[8:9], exec, s[8:9]
	s_cbranch_execz .LBB24_14
; %bb.9:                                ;   in Loop: Header=BB24_7 Depth=2
	v_cmp_ne_u32_e64 s[4:5], v4, v8
                                        ; implicit-def: $vgpr3
	s_and_saveexec_b64 s[20:21], s[4:5]
	s_xor_b64 s[20:21], exec, s[20:21]
	s_cbranch_execz .LBB24_11
; %bb.10:                               ;   in Loop: Header=BB24_7 Depth=2
	v_ashrrev_i32_e32 v1, 31, v4
	v_mul_lo_u32 v5, v4, s19
	v_mul_lo_u32 v1, v1, s18
	v_mad_u64_u32 v[2:3], s[4:5], v4, s18, 0
	v_add3_u32 v3, v3, v5, v1
	v_lshlrev_b64 v[2:3], 3, v[2:3]
	v_add_co_u32_e64 v2, s[4:5], v16, v2
	v_addc_co_u32_e64 v3, s[4:5], v17, v3, s[4:5]
	global_load_dwordx2 v[2:3], v[2:3], off
.LBB24_11:                              ;   in Loop: Header=BB24_7 Depth=2
	s_andn2_saveexec_b64 s[4:5], s[20:21]
	s_cbranch_execz .LBB24_13
; %bb.12:                               ;   in Loop: Header=BB24_7 Depth=2
	global_load_dword v2, v[10:11], off
	s_waitcnt vmcnt(1)
	v_mov_b32_e32 v3, 0
.LBB24_13:                              ;   in Loop: Header=BB24_7 Depth=2
	s_or_b64 exec, exec, s[4:5]
                                        ; implicit-def: $vgpr4
.LBB24_14:                              ;   in Loop: Header=BB24_7 Depth=2
	s_andn2_saveexec_b64 s[8:9], s[8:9]
	s_cbranch_execz .LBB24_16
; %bb.15:                               ;   in Loop: Header=BB24_7 Depth=2
	v_ashrrev_i32_e32 v5, 31, v4
	s_waitcnt vmcnt(0)
	v_lshlrev_b64 v[2:3], 3, v[4:5]
	v_add_co_u32_e64 v2, s[4:5], v9, v2
	v_addc_co_u32_e64 v3, s[4:5], v18, v3, s[4:5]
	global_load_dwordx2 v[2:3], v[2:3], off
	s_waitcnt vmcnt(0)
	v_xor_b32_e32 v3, 0x80000000, v3
.LBB24_16:                              ;   in Loop: Header=BB24_7 Depth=2
	s_or_b64 exec, exec, s[8:9]
.LBB24_17:                              ;   in Loop: Header=BB24_7 Depth=2
	s_or_b64 exec, exec, s[16:17]
	s_waitcnt vmcnt(0)
	ds_write_b64 v20, v[2:3]
	v_add_u32_e32 v2, s6, v14
	v_cmp_gt_i32_e64 s[4:5], s29, v2
	s_and_b64 s[4:5], s[4:5], vcc
	v_mov_b32_e32 v1, 0
	s_and_saveexec_b64 s[8:9], s[4:5]
	s_cbranch_execz .LBB24_19
; %bb.18:                               ;   in Loop: Header=BB24_7 Depth=2
	v_ashrrev_i32_e32 v3, 31, v2
	v_lshlrev_b64 v[0:1], 3, v[2:3]
	v_add_co_u32_e64 v0, s[4:5], v25, v0
	v_addc_co_u32_e64 v1, s[4:5], v26, v1, s[4:5]
	global_load_dwordx2 v[0:1], v[0:1], off
.LBB24_19:                              ;   in Loop: Header=BB24_7 Depth=2
	s_or_b64 exec, exec, s[8:9]
	s_waitcnt vmcnt(0)
	ds_write_b64 v22, v[0:1]
	s_waitcnt lgkmcnt(0)
	s_barrier
	s_and_saveexec_b64 s[4:5], s[14:15]
	s_cbranch_execz .LBB24_6
; %bb.20:                               ;   in Loop: Header=BB24_7 Depth=2
	ds_read2_b64 v[0:3], v21 offset1:32
	ds_read_b128 v[4:7], v19
	ds_read_b128 v[28:31], v19 offset:16
	ds_read_b128 v[32:35], v19 offset:32
	;; [unrolled: 1-line block ×3, first 2 shown]
	ds_read2_b64 v[40:43], v21 offset0:64 offset1:96
	s_waitcnt lgkmcnt(4)
	v_mul_f32_e32 v27, v1, v5
	v_fma_f32 v27, v0, v4, -v27
	v_mul_f32_e32 v0, v0, v5
	v_fmac_f32_e32 v0, v1, v4
	v_mul_f32_e32 v4, v3, v7
	v_fma_f32 v4, v2, v6, -v4
	v_mul_f32_e32 v2, v2, v7
	v_add_f32_e32 v0, 0, v0
	v_fmac_f32_e32 v2, v3, v6
	s_waitcnt lgkmcnt(0)
	v_mul_f32_e32 v3, v40, v29
	v_add_f32_e32 v1, 0, v27
	v_add_f32_e32 v0, v0, v2
	v_mul_f32_e32 v2, v41, v29
	v_fmac_f32_e32 v3, v41, v28
	v_add_f32_e32 v1, v1, v4
	v_fma_f32 v2, v40, v28, -v2
	v_add_f32_e32 v5, v0, v3
	v_mul_f32_e32 v0, v43, v31
	v_add_f32_e32 v4, v1, v2
	v_fma_f32 v6, v42, v30, -v0
	ds_read2_b64 v[0:3], v21 offset0:128 offset1:160
	v_mul_f32_e32 v7, v42, v31
	v_add_f32_e32 v4, v4, v6
	v_fmac_f32_e32 v7, v43, v30
	v_add_f32_e32 v5, v5, v7
	s_waitcnt lgkmcnt(0)
	v_mul_f32_e32 v6, v1, v33
	v_fma_f32 v6, v0, v32, -v6
	v_mul_f32_e32 v0, v0, v33
	v_fmac_f32_e32 v0, v1, v32
	v_add_f32_e32 v1, v4, v6
	v_mul_f32_e32 v4, v3, v35
	v_add_f32_e32 v0, v5, v0
	v_fma_f32 v27, v2, v34, -v4
	ds_read2_b64 v[4:7], v21 offset0:192 offset1:224
	v_mul_f32_e32 v2, v2, v35
	v_fmac_f32_e32 v2, v3, v34
	v_add_f32_e32 v0, v0, v2
	v_add_f32_e32 v1, v1, v27
	s_waitcnt lgkmcnt(0)
	v_mul_f32_e32 v3, v4, v37
	v_mul_f32_e32 v2, v5, v37
	v_fmac_f32_e32 v3, v5, v36
	v_fma_f32 v2, v4, v36, -v2
	v_add_f32_e32 v5, v0, v3
	v_mul_f32_e32 v0, v7, v39
	v_add_u32_e32 v36, 0x800, v21
	v_add_f32_e32 v4, v1, v2
	v_fma_f32 v27, v6, v38, -v0
	ds_read2_b64 v[0:3], v36 offset1:32
	ds_read_b128 v[28:31], v19 offset:64
	v_mul_f32_e32 v6, v6, v39
	v_fmac_f32_e32 v6, v7, v38
	v_add_f32_e32 v27, v4, v27
	v_add_f32_e32 v32, v5, v6
	s_waitcnt lgkmcnt(0)
	v_mul_f32_e32 v33, v1, v29
	v_fma_f32 v33, v0, v28, -v33
	v_mul_f32_e32 v0, v0, v29
	v_fmac_f32_e32 v0, v1, v28
	ds_read_b128 v[4:7], v19 offset:80
	v_add_f32_e32 v1, v27, v33
	v_add_f32_e32 v0, v32, v0
	ds_read2_b64 v[32:35], v36 offset0:64 offset1:96
	v_mul_f32_e32 v27, v3, v31
	v_fma_f32 v27, v2, v30, -v27
	v_mul_f32_e32 v2, v2, v31
	v_fmac_f32_e32 v2, v3, v30
	s_waitcnt lgkmcnt(0)
	v_mul_f32_e32 v3, v32, v5
	v_add_f32_e32 v0, v0, v2
	v_mul_f32_e32 v2, v33, v5
	v_fmac_f32_e32 v3, v33, v4
	v_add_f32_e32 v1, v1, v27
	v_fma_f32 v2, v32, v4, -v2
	v_add_f32_e32 v5, v0, v3
	v_mul_f32_e32 v0, v35, v7
	v_add_f32_e32 v4, v1, v2
	v_fma_f32 v27, v34, v6, -v0
	ds_read2_b64 v[0:3], v36 offset0:128 offset1:160
	ds_read_b128 v[28:31], v19 offset:96
	v_mul_f32_e32 v7, v34, v7
	v_fmac_f32_e32 v7, v35, v6
	v_add_f32_e32 v27, v4, v27
	v_add_f32_e32 v32, v5, v7
	s_waitcnt lgkmcnt(0)
	v_mul_f32_e32 v33, v1, v29
	v_fma_f32 v33, v0, v28, -v33
	v_mul_f32_e32 v0, v0, v29
	v_fmac_f32_e32 v0, v1, v28
	ds_read_b128 v[4:7], v19 offset:112
	v_add_f32_e32 v1, v27, v33
	v_add_f32_e32 v0, v32, v0
	ds_read2_b64 v[32:35], v36 offset0:192 offset1:224
	v_mul_f32_e32 v27, v3, v31
	v_fma_f32 v27, v2, v30, -v27
	v_mul_f32_e32 v2, v2, v31
	v_fmac_f32_e32 v2, v3, v30
	s_waitcnt lgkmcnt(0)
	v_mul_f32_e32 v3, v32, v5
	v_add_f32_e32 v0, v0, v2
	v_mul_f32_e32 v2, v33, v5
	v_fmac_f32_e32 v3, v33, v4
	v_add_f32_e32 v1, v1, v27
	v_fma_f32 v2, v32, v4, -v2
	v_add_f32_e32 v5, v0, v3
	v_mul_f32_e32 v0, v35, v7
	v_add_u32_e32 v40, 0x1000, v21
	v_add_f32_e32 v4, v1, v2
	v_fma_f32 v27, v34, v6, -v0
	ds_read2_b64 v[0:3], v40 offset1:32
	ds_read_b128 v[28:31], v19 offset:128
	v_mul_f32_e32 v7, v34, v7
	v_fmac_f32_e32 v7, v35, v6
	ds_read_b128 v[32:35], v19 offset:144
	ds_read2_b64 v[36:39], v40 offset0:64 offset1:96
	s_waitcnt lgkmcnt(2)
	v_mul_f32_e32 v6, v1, v29
	v_add_f32_e32 v4, v4, v27
	v_fma_f32 v6, v0, v28, -v6
	v_mul_f32_e32 v0, v0, v29
	v_fmac_f32_e32 v0, v1, v28
	v_add_f32_e32 v1, v4, v6
	v_mul_f32_e32 v4, v3, v31
	v_add_f32_e32 v5, v5, v7
	v_fma_f32 v4, v2, v30, -v4
	v_mul_f32_e32 v2, v2, v31
	v_add_f32_e32 v0, v5, v0
	v_fmac_f32_e32 v2, v3, v30
	s_waitcnt lgkmcnt(0)
	v_mul_f32_e32 v3, v36, v33
	v_add_f32_e32 v0, v0, v2
	v_mul_f32_e32 v2, v37, v33
	v_fmac_f32_e32 v3, v37, v32
	v_add_f32_e32 v1, v1, v4
	v_fma_f32 v2, v36, v32, -v2
	v_add_f32_e32 v28, v0, v3
	v_mul_f32_e32 v0, v39, v35
	v_add_f32_e32 v27, v1, v2
	v_fma_f32 v29, v38, v34, -v0
	ds_read2_b64 v[0:3], v40 offset0:128 offset1:160
	ds_read_b128 v[4:7], v19 offset:160
	global_load_dwordx2 v[36:37], v[12:13], off
	v_mul_f32_e32 v30, v38, v35
	v_fmac_f32_e32 v30, v39, v34
	v_add_f32_e32 v27, v27, v29
	s_waitcnt lgkmcnt(0)
	v_mul_f32_e32 v33, v1, v5
	v_fma_f32 v33, v0, v4, -v33
	v_mul_f32_e32 v0, v0, v5
	v_add_f32_e32 v32, v28, v30
	v_fmac_f32_e32 v0, v1, v4
	ds_read_b128 v[28:31], v19 offset:176
	v_add_f32_e32 v1, v27, v33
	v_add_f32_e32 v0, v32, v0
	ds_read2_b64 v[32:35], v40 offset0:192 offset1:224
	v_mul_f32_e32 v4, v3, v7
	v_fma_f32 v4, v2, v6, -v4
	v_mul_f32_e32 v2, v2, v7
	v_fmac_f32_e32 v2, v3, v6
	s_waitcnt lgkmcnt(0)
	v_mul_f32_e32 v3, v32, v29
	v_add_f32_e32 v0, v0, v2
	v_mul_f32_e32 v2, v33, v29
	v_fmac_f32_e32 v3, v33, v28
	v_add_f32_e32 v1, v1, v4
	v_fma_f32 v2, v32, v28, -v2
	v_add_f32_e32 v28, v0, v3
	v_mul_f32_e32 v0, v35, v31
	v_add_u32_e32 v38, 0x1800, v21
	v_add_f32_e32 v27, v1, v2
	v_fma_f32 v29, v34, v30, -v0
	ds_read2_b64 v[0:3], v38 offset1:32
	ds_read_b128 v[4:7], v19 offset:192
	v_mul_f32_e32 v31, v34, v31
	v_fmac_f32_e32 v31, v35, v30
	v_add_f32_e32 v27, v27, v29
	v_add_f32_e32 v32, v28, v31
	s_waitcnt lgkmcnt(0)
	v_mul_f32_e32 v33, v1, v5
	v_fma_f32 v33, v0, v4, -v33
	v_mul_f32_e32 v0, v0, v5
	v_fmac_f32_e32 v0, v1, v4
	ds_read_b128 v[28:31], v19 offset:208
	v_add_f32_e32 v1, v27, v33
	v_add_f32_e32 v0, v32, v0
	ds_read2_b64 v[32:35], v38 offset0:64 offset1:96
	v_mul_f32_e32 v4, v3, v7
	v_fma_f32 v4, v2, v6, -v4
	v_mul_f32_e32 v2, v2, v7
	v_fmac_f32_e32 v2, v3, v6
	s_waitcnt lgkmcnt(0)
	v_mul_f32_e32 v3, v32, v29
	v_add_f32_e32 v0, v0, v2
	v_mul_f32_e32 v2, v33, v29
	v_fmac_f32_e32 v3, v33, v28
	v_add_f32_e32 v1, v1, v4
	v_fma_f32 v2, v32, v28, -v2
	v_add_f32_e32 v28, v0, v3
	v_mul_f32_e32 v0, v35, v31
	v_add_f32_e32 v27, v1, v2
	v_fma_f32 v29, v34, v30, -v0
	ds_read2_b64 v[0:3], v38 offset0:128 offset1:160
	ds_read_b128 v[4:7], v19 offset:224
	v_mul_f32_e32 v31, v34, v31
	v_fmac_f32_e32 v31, v35, v30
	v_add_f32_e32 v27, v27, v29
	v_add_f32_e32 v32, v28, v31
	s_waitcnt lgkmcnt(0)
	v_mul_f32_e32 v33, v1, v5
	v_fma_f32 v33, v0, v4, -v33
	v_mul_f32_e32 v0, v0, v5
	v_fmac_f32_e32 v0, v1, v4
	ds_read_b128 v[28:31], v19 offset:240
	v_add_f32_e32 v1, v27, v33
	v_add_f32_e32 v0, v32, v0
	ds_read2_b64 v[32:35], v38 offset0:192 offset1:224
	v_mul_f32_e32 v4, v3, v7
	v_fma_f32 v4, v2, v6, -v4
	v_mul_f32_e32 v2, v2, v7
	v_fmac_f32_e32 v2, v3, v6
	v_add_f32_e32 v0, v0, v2
	s_waitcnt lgkmcnt(0)
	v_mul_f32_e32 v2, v33, v29
	v_mul_f32_e32 v3, v32, v29
	v_add_f32_e32 v1, v1, v4
	v_fma_f32 v2, v32, v28, -v2
	v_fmac_f32_e32 v3, v33, v28
	v_add_f32_e32 v1, v1, v2
	v_add_f32_e32 v2, v0, v3
	v_mul_f32_e32 v3, v34, v31
	v_mul_f32_e32 v0, v35, v31
	v_fmac_f32_e32 v3, v35, v30
	v_fma_f32 v0, v34, v30, -v0
	v_add_f32_e32 v2, v2, v3
	v_add_f32_e32 v0, v1, v0
	v_pk_mul_f32 v[2:3], s[10:11], v[2:3] op_sel_hi:[1,0]
	v_pk_fma_f32 v[4:5], s[10:11], v[0:1], v[2:3] op_sel:[0,0,1] op_sel_hi:[1,1,0] neg_lo:[0,0,1] neg_hi:[0,0,1]
	v_pk_fma_f32 v[0:1], s[10:11], v[0:1], v[2:3] op_sel:[0,0,1] op_sel_hi:[1,0,0]
	v_mov_b32_e32 v5, v1
	s_waitcnt vmcnt(0)
	v_pk_add_f32 v[0:1], v[36:37], v[4:5]
	global_store_dwordx2 v[12:13], v[0:1], off
	s_branch .LBB24_6
.LBB24_21:
	s_endpgm
	.section	.rodata,"a",@progbits
	.p2align	6, 0x0
	.amdhsa_kernel _ZL24rocblas_symm_hemm_kernelILb1ELb0ELi32EPK19rocblas_complex_numIfES3_PS1_EvbiiT2_T3_lllS6_lllT4_llli
		.amdhsa_group_segment_fixed_size 16384
		.amdhsa_private_segment_fixed_size 0
		.amdhsa_kernarg_size 384
		.amdhsa_user_sgpr_count 6
		.amdhsa_user_sgpr_private_segment_buffer 1
		.amdhsa_user_sgpr_dispatch_ptr 0
		.amdhsa_user_sgpr_queue_ptr 0
		.amdhsa_user_sgpr_kernarg_segment_ptr 1
		.amdhsa_user_sgpr_dispatch_id 0
		.amdhsa_user_sgpr_flat_scratch_init 0
		.amdhsa_user_sgpr_kernarg_preload_length 0
		.amdhsa_user_sgpr_kernarg_preload_offset 0
		.amdhsa_user_sgpr_private_segment_size 0
		.amdhsa_uses_dynamic_stack 0
		.amdhsa_system_sgpr_private_segment_wavefront_offset 0
		.amdhsa_system_sgpr_workgroup_id_x 1
		.amdhsa_system_sgpr_workgroup_id_y 1
		.amdhsa_system_sgpr_workgroup_id_z 1
		.amdhsa_system_sgpr_workgroup_info 0
		.amdhsa_system_vgpr_workitem_id 1
		.amdhsa_next_free_vgpr 44
		.amdhsa_next_free_sgpr 44
		.amdhsa_accum_offset 44
		.amdhsa_reserve_vcc 1
		.amdhsa_reserve_flat_scratch 0
		.amdhsa_float_round_mode_32 0
		.amdhsa_float_round_mode_16_64 0
		.amdhsa_float_denorm_mode_32 3
		.amdhsa_float_denorm_mode_16_64 3
		.amdhsa_dx10_clamp 1
		.amdhsa_ieee_mode 1
		.amdhsa_fp16_overflow 0
		.amdhsa_tg_split 0
		.amdhsa_exception_fp_ieee_invalid_op 0
		.amdhsa_exception_fp_denorm_src 0
		.amdhsa_exception_fp_ieee_div_zero 0
		.amdhsa_exception_fp_ieee_overflow 0
		.amdhsa_exception_fp_ieee_underflow 0
		.amdhsa_exception_fp_ieee_inexact 0
		.amdhsa_exception_int_div_zero 0
	.end_amdhsa_kernel
	.section	.text._ZL24rocblas_symm_hemm_kernelILb1ELb0ELi32EPK19rocblas_complex_numIfES3_PS1_EvbiiT2_T3_lllS6_lllT4_llli,"axG",@progbits,_ZL24rocblas_symm_hemm_kernelILb1ELb0ELi32EPK19rocblas_complex_numIfES3_PS1_EvbiiT2_T3_lllS6_lllT4_llli,comdat
.Lfunc_end24:
	.size	_ZL24rocblas_symm_hemm_kernelILb1ELb0ELi32EPK19rocblas_complex_numIfES3_PS1_EvbiiT2_T3_lllS6_lllT4_llli, .Lfunc_end24-_ZL24rocblas_symm_hemm_kernelILb1ELb0ELi32EPK19rocblas_complex_numIfES3_PS1_EvbiiT2_T3_lllS6_lllT4_llli
                                        ; -- End function
	.section	.AMDGPU.csdata,"",@progbits
; Kernel info:
; codeLenInByte = 2292
; NumSgprs: 48
; NumVgprs: 44
; NumAgprs: 0
; TotalNumVgprs: 44
; ScratchSize: 0
; MemoryBound: 0
; FloatMode: 240
; IeeeMode: 1
; LDSByteSize: 16384 bytes/workgroup (compile time only)
; SGPRBlocks: 5
; VGPRBlocks: 5
; NumSGPRsForWavesPerEU: 48
; NumVGPRsForWavesPerEU: 44
; AccumOffset: 44
; Occupancy: 8
; WaveLimiterHint : 0
; COMPUTE_PGM_RSRC2:SCRATCH_EN: 0
; COMPUTE_PGM_RSRC2:USER_SGPR: 6
; COMPUTE_PGM_RSRC2:TRAP_HANDLER: 0
; COMPUTE_PGM_RSRC2:TGID_X_EN: 1
; COMPUTE_PGM_RSRC2:TGID_Y_EN: 1
; COMPUTE_PGM_RSRC2:TGID_Z_EN: 1
; COMPUTE_PGM_RSRC2:TIDIG_COMP_CNT: 1
; COMPUTE_PGM_RSRC3_GFX90A:ACCUM_OFFSET: 10
; COMPUTE_PGM_RSRC3_GFX90A:TG_SPLIT: 0
	.section	.text._ZL24rocblas_symm_hemm_kernelILb1ELb1ELi32EPK19rocblas_complex_numIfES3_PS1_EvbiiT2_T3_lllS6_lllT4_llli,"axG",@progbits,_ZL24rocblas_symm_hemm_kernelILb1ELb1ELi32EPK19rocblas_complex_numIfES3_PS1_EvbiiT2_T3_lllS6_lllT4_llli,comdat
	.globl	_ZL24rocblas_symm_hemm_kernelILb1ELb1ELi32EPK19rocblas_complex_numIfES3_PS1_EvbiiT2_T3_lllS6_lllT4_llli ; -- Begin function _ZL24rocblas_symm_hemm_kernelILb1ELb1ELi32EPK19rocblas_complex_numIfES3_PS1_EvbiiT2_T3_lllS6_lllT4_llli
	.p2align	8
	.type	_ZL24rocblas_symm_hemm_kernelILb1ELb1ELi32EPK19rocblas_complex_numIfES3_PS1_EvbiiT2_T3_lllS6_lllT4_llli,@function
_ZL24rocblas_symm_hemm_kernelILb1ELb1ELi32EPK19rocblas_complex_numIfES3_PS1_EvbiiT2_T3_lllS6_lllT4_llli: ; @_ZL24rocblas_symm_hemm_kernelILb1ELb1ELi32EPK19rocblas_complex_numIfES3_PS1_EvbiiT2_T3_lllS6_lllT4_llli
; %bb.0:
	s_load_dwordx16 s[12:27], s[4:5], 0x10
	s_waitcnt lgkmcnt(0)
	s_load_dwordx2 s[10:11], s[12:13], 0x0
	s_waitcnt lgkmcnt(0)
	v_cmp_eq_f32_e64 s[0:1], s10, 0
	v_cmp_eq_f32_e64 s[2:3], s11, 0
	s_and_b64 s[0:1], s[0:1], s[2:3]
	s_and_b64 vcc, exec, s[0:1]
	s_cbranch_vccnz .LBB25_21
; %bb.1:
	s_load_dwordx4 s[28:31], s[4:5], 0x0
	s_waitcnt lgkmcnt(0)
	s_add_i32 s0, s30, -1
	s_ashr_i32 s1, s0, 31
	s_lshr_b32 s1, s1, 27
	s_add_i32 s0, s0, s1
	s_ashr_i32 s31, s0, 5
	s_cmp_gt_i32 s7, s31
	s_cbranch_scc1 .LBB25_21
; %bb.2:
	s_mul_i32 s0, s8, s21
	s_mul_hi_u32 s1, s8, s20
	s_add_i32 s1, s1, s0
	s_mul_i32 s0, s8, s20
	s_lshl_b64 s[0:1], s[0:1], 3
	s_add_u32 s2, s14, s0
	s_addc_u32 s3, s15, s1
	s_lshl_b64 s[0:1], s[16:17], 3
	s_add_u32 s20, s2, s0
	s_addc_u32 s21, s3, s1
	s_load_dwordx2 s[2:3], s[4:5], 0x70
	s_bitcmp1_b32 s28, 0
	s_load_dwordx8 s[36:43], s[4:5], 0x50
	s_load_dword s28, s[4:5], 0x84
	s_cselect_b64 s[0:1], -1, 0
	v_and_b32_e32 v14, 0x3ff, v0
	s_waitcnt lgkmcnt(0)
	s_mul_i32 s3, s8, s3
	s_mul_hi_u32 s4, s8, s2
	s_add_i32 s3, s4, s3
	s_mul_i32 s2, s8, s2
	s_lshl_b64 s[2:3], s[2:3], 3
	s_add_u32 s4, s38, s2
	s_addc_u32 s5, s39, s3
	s_lshl_b64 s[2:3], s[40:41], 3
	s_add_u32 s4, s4, s2
	s_addc_u32 s5, s5, s3
	s_mul_i32 s2, s8, s37
	s_mul_hi_u32 s3, s8, s36
	s_add_i32 s3, s3, s2
	s_mul_i32 s2, s8, s36
	s_lshl_b64 s[2:3], s[2:3], 3
	s_add_u32 s8, s22, s2
	s_addc_u32 s9, s23, s3
	s_lshl_b64 s[2:3], s[24:25], 3
	v_lshl_add_u32 v2, s6, 5, v14
	s_add_u32 s8, s8, s2
	v_ashrrev_i32_e32 v3, 31, v2
	s_addc_u32 s9, s9, s3
	v_bfe_u32 v15, v0, 10, 10
	v_lshlrev_b64 v[0:1], 3, v[2:3]
	v_cmp_gt_i32_e64 s[2:3], s29, v2
	v_mov_b32_e32 v2, s9
	v_add_co_u32_e32 v16, vcc, s8, v0
	s_cmp_gt_i32 s30, 0
	v_addc_co_u32_e32 v17, vcc, v2, v1, vcc
	v_lshlrev_b32_e32 v2, 3, v15
	v_lshlrev_b32_e32 v18, 8, v14
	v_add_u32_e32 v19, v18, v2
	v_or_b32_e32 v20, 0x2000, v2
	v_mov_b32_e32 v2, s5
	v_add_co_u32_e32 v22, vcc, s4, v0
	v_lshl_add_u32 v0, s7, 5, v15
	s_cselect_b64 s[4:5], -1, 0
	v_sub_u32_e32 v24, 0, v0
	v_cndmask_b32_e64 v0, 0, 1, s[4:5]
	v_add_u32_e32 v21, v20, v18
	v_addc_co_u32_e32 v23, vcc, v2, v1, vcc
	s_lshl_b32 s6, s28, 5
	v_cmp_ne_u32_e64 s[4:5], 1, v0
	s_branch .LBB25_4
.LBB25_3:                               ;   in Loop: Header=BB25_4 Depth=1
	s_add_i32 s7, s7, s28
	s_cmp_gt_i32 s7, s31
	v_subrev_u32_e32 v24, s6, v24
	s_cbranch_scc1 .LBB25_21
.LBB25_4:                               ; =>This Loop Header: Depth=1
                                        ;     Child Loop BB25_7 Depth 2
	s_and_b64 vcc, exec, s[4:5]
	s_cbranch_vccnz .LBB25_3
; %bb.5:                                ;   in Loop: Header=BB25_4 Depth=1
	v_lshl_add_u32 v8, s7, 5, v15
	v_ashrrev_i32_e32 v9, 31, v8
	v_mul_lo_u32 v2, v9, s18
	v_mul_lo_u32 v3, v8, s19
	v_mad_u64_u32 v[0:1], s[8:9], v8, s18, 0
	v_add3_u32 v1, v1, v3, v2
	v_lshlrev_b64 v[0:1], 3, v[0:1]
	v_mov_b32_e32 v2, s21
	v_add_co_u32_e32 v25, vcc, s20, v0
	v_addc_co_u32_e32 v26, vcc, v2, v1, vcc
	v_lshlrev_b64 v[0:1], 3, v[8:9]
	v_add_co_u32_e32 v27, vcc, s20, v0
	v_addc_co_u32_e32 v28, vcc, v2, v1, vcc
	v_mul_lo_u32 v4, v9, s42
	v_mul_lo_u32 v5, v8, s43
	v_mad_u64_u32 v[2:3], s[8:9], v8, s42, 0
	v_add3_u32 v3, v3, v5, v4
	v_cmp_gt_i32_e32 vcc, s30, v8
	v_lshlrev_b64 v[2:3], 3, v[2:3]
	s_and_b64 s[12:13], s[2:3], vcc
	v_add_co_u32_e32 v10, vcc, v22, v2
	v_addc_co_u32_e32 v11, vcc, v23, v3, vcc
	v_add_co_u32_e32 v12, vcc, v25, v0
	v_addc_co_u32_e32 v13, vcc, v26, v1, vcc
	v_add_u32_e32 v9, v14, v24
	s_mov_b32 s22, 0
	s_branch .LBB25_7
.LBB25_6:                               ;   in Loop: Header=BB25_7 Depth=2
	s_or_b64 exec, exec, s[8:9]
	s_add_i32 s22, s22, 32
	s_cmp_ge_i32 s22, s30
	s_barrier
	s_cbranch_scc1 .LBB25_3
.LBB25_7:                               ;   Parent Loop BB25_4 Depth=1
                                        ; =>  This Inner Loop Header: Depth=2
	v_add_u32_e32 v1, s22, v15
	v_cmp_gt_i32_e32 vcc, s30, v1
	s_and_b64 s[14:15], s[2:3], vcc
	v_mov_b32_e32 v0, 0
	v_mov_b32_e32 v2, 0
	;; [unrolled: 1-line block ×3, first 2 shown]
	s_and_saveexec_b64 s[8:9], s[14:15]
	s_cbranch_execz .LBB25_9
; %bb.8:                                ;   in Loop: Header=BB25_7 Depth=2
	v_ashrrev_i32_e32 v2, 31, v1
	v_mul_lo_u32 v4, v1, s27
	v_mul_lo_u32 v5, v2, s26
	v_mad_u64_u32 v[2:3], s[14:15], v1, s26, 0
	v_add3_u32 v3, v3, v4, v5
	v_lshlrev_b64 v[2:3], 3, v[2:3]
	v_add_co_u32_e32 v2, vcc, v16, v2
	v_addc_co_u32_e32 v3, vcc, v17, v3, vcc
	global_load_dwordx2 v[2:3], v[2:3], off
.LBB25_9:                               ;   in Loop: Header=BB25_7 Depth=2
	s_or_b64 exec, exec, s[8:9]
	s_waitcnt vmcnt(0)
	ds_write_b64 v19, v[2:3]
	v_add_u32_e32 v2, s22, v14
	v_cndmask_b32_e64 v1, v8, v2, s[0:1]
	v_cndmask_b32_e64 v3, v2, v8, s[0:1]
	v_cmp_gt_i32_e64 s[8:9], v1, v3
	v_cmp_le_i32_e32 vcc, v1, v3
	v_cndmask_b32_e64 v1, v2, v8, s[8:9]
	v_cndmask_b32_e64 v3, v8, v2, s[8:9]
	v_max_i32_e32 v1, v1, v3
	v_cmp_gt_i32_e64 s[8:9], s30, v1
	v_mov_b32_e32 v1, 0
	s_and_saveexec_b64 s[14:15], s[8:9]
	s_cbranch_execz .LBB25_19
; %bb.10:                               ;   in Loop: Header=BB25_7 Depth=2
                                        ; implicit-def: $vgpr1
	s_and_saveexec_b64 s[8:9], vcc
	s_xor_b64 s[8:9], exec, s[8:9]
	s_cbranch_execz .LBB25_16
; %bb.11:                               ;   in Loop: Header=BB25_7 Depth=2
	v_add_u32_e32 v0, s22, v9
	v_cmp_ne_u32_e32 vcc, 0, v0
                                        ; implicit-def: $vgpr1
	s_and_saveexec_b64 s[16:17], vcc
	s_xor_b64 s[16:17], exec, s[16:17]
	s_cbranch_execz .LBB25_13
; %bb.12:                               ;   in Loop: Header=BB25_7 Depth=2
	v_ashrrev_i32_e32 v3, 31, v2
	v_lshlrev_b64 v[0:1], 3, v[2:3]
	v_add_co_u32_e32 v0, vcc, v25, v0
	v_addc_co_u32_e32 v1, vcc, v26, v1, vcc
	global_load_dwordx2 v[0:1], v[0:1], off
.LBB25_13:                              ;   in Loop: Header=BB25_7 Depth=2
	s_andn2_saveexec_b64 s[16:17], s[16:17]
	s_cbranch_execz .LBB25_15
; %bb.14:                               ;   in Loop: Header=BB25_7 Depth=2
	global_load_dword v0, v[12:13], off
	s_waitcnt vmcnt(1)
	v_mov_b32_e32 v1, 0
.LBB25_15:                              ;   in Loop: Header=BB25_7 Depth=2
	s_or_b64 exec, exec, s[16:17]
                                        ; implicit-def: $vgpr2
.LBB25_16:                              ;   in Loop: Header=BB25_7 Depth=2
	s_andn2_saveexec_b64 s[8:9], s[8:9]
	s_cbranch_execz .LBB25_18
; %bb.17:                               ;   in Loop: Header=BB25_7 Depth=2
	s_waitcnt vmcnt(0)
	v_ashrrev_i32_e32 v0, 31, v2
	v_mul_lo_u32 v3, v2, s19
	v_mul_lo_u32 v4, v0, s18
	v_mad_u64_u32 v[0:1], s[16:17], v2, s18, 0
	v_add3_u32 v1, v1, v3, v4
	v_lshlrev_b64 v[0:1], 3, v[0:1]
	v_add_co_u32_e32 v0, vcc, v27, v0
	v_addc_co_u32_e32 v1, vcc, v28, v1, vcc
	global_load_dwordx2 v[0:1], v[0:1], off
	s_waitcnt vmcnt(0)
	v_xor_b32_e32 v1, 0x80000000, v1
.LBB25_18:                              ;   in Loop: Header=BB25_7 Depth=2
	s_or_b64 exec, exec, s[8:9]
.LBB25_19:                              ;   in Loop: Header=BB25_7 Depth=2
	s_or_b64 exec, exec, s[14:15]
	s_waitcnt vmcnt(0)
	ds_write_b64 v21, v[0:1]
	s_waitcnt lgkmcnt(0)
	s_barrier
	s_and_saveexec_b64 s[8:9], s[12:13]
	s_cbranch_execz .LBB25_6
; %bb.20:                               ;   in Loop: Header=BB25_7 Depth=2
	ds_read2_b64 v[0:3], v20 offset1:32
	ds_read_b128 v[4:7], v18
	ds_read_b128 v[30:33], v18 offset:16
	ds_read_b128 v[34:37], v18 offset:32
	;; [unrolled: 1-line block ×3, first 2 shown]
	ds_read2_b64 v[42:45], v20 offset0:64 offset1:96
	s_waitcnt lgkmcnt(4)
	v_mul_f32_e32 v29, v1, v5
	v_fma_f32 v29, v0, v4, -v29
	v_mul_f32_e32 v0, v0, v5
	v_fmac_f32_e32 v0, v1, v4
	v_mul_f32_e32 v4, v3, v7
	v_fma_f32 v4, v2, v6, -v4
	v_mul_f32_e32 v2, v2, v7
	v_add_f32_e32 v0, 0, v0
	v_fmac_f32_e32 v2, v3, v6
	s_waitcnt lgkmcnt(0)
	v_mul_f32_e32 v3, v42, v31
	v_add_f32_e32 v1, 0, v29
	v_add_f32_e32 v0, v0, v2
	v_mul_f32_e32 v2, v43, v31
	v_fmac_f32_e32 v3, v43, v30
	v_add_f32_e32 v1, v1, v4
	v_fma_f32 v2, v42, v30, -v2
	v_add_f32_e32 v5, v0, v3
	v_mul_f32_e32 v0, v45, v33
	v_add_f32_e32 v4, v1, v2
	v_fma_f32 v6, v44, v32, -v0
	ds_read2_b64 v[0:3], v20 offset0:128 offset1:160
	v_mul_f32_e32 v7, v44, v33
	v_add_f32_e32 v4, v4, v6
	v_fmac_f32_e32 v7, v45, v32
	v_add_f32_e32 v5, v5, v7
	s_waitcnt lgkmcnt(0)
	v_mul_f32_e32 v6, v1, v35
	v_fma_f32 v6, v0, v34, -v6
	v_mul_f32_e32 v0, v0, v35
	v_fmac_f32_e32 v0, v1, v34
	v_add_f32_e32 v1, v4, v6
	v_mul_f32_e32 v4, v3, v37
	v_add_f32_e32 v0, v5, v0
	v_fma_f32 v29, v2, v36, -v4
	ds_read2_b64 v[4:7], v20 offset0:192 offset1:224
	v_mul_f32_e32 v2, v2, v37
	v_fmac_f32_e32 v2, v3, v36
	v_add_f32_e32 v0, v0, v2
	v_add_f32_e32 v1, v1, v29
	s_waitcnt lgkmcnt(0)
	v_mul_f32_e32 v3, v4, v39
	v_mul_f32_e32 v2, v5, v39
	v_fmac_f32_e32 v3, v5, v38
	v_fma_f32 v2, v4, v38, -v2
	v_add_f32_e32 v5, v0, v3
	v_mul_f32_e32 v0, v7, v41
	v_add_u32_e32 v38, 0x800, v20
	v_add_f32_e32 v4, v1, v2
	v_fma_f32 v29, v6, v40, -v0
	ds_read2_b64 v[0:3], v38 offset1:32
	ds_read_b128 v[30:33], v18 offset:64
	v_mul_f32_e32 v6, v6, v41
	v_fmac_f32_e32 v6, v7, v40
	v_add_f32_e32 v29, v4, v29
	v_add_f32_e32 v34, v5, v6
	s_waitcnt lgkmcnt(0)
	v_mul_f32_e32 v35, v1, v31
	v_fma_f32 v35, v0, v30, -v35
	v_mul_f32_e32 v0, v0, v31
	v_fmac_f32_e32 v0, v1, v30
	ds_read_b128 v[4:7], v18 offset:80
	v_add_f32_e32 v1, v29, v35
	v_add_f32_e32 v0, v34, v0
	ds_read2_b64 v[34:37], v38 offset0:64 offset1:96
	v_mul_f32_e32 v29, v3, v33
	v_fma_f32 v29, v2, v32, -v29
	v_mul_f32_e32 v2, v2, v33
	v_fmac_f32_e32 v2, v3, v32
	s_waitcnt lgkmcnt(0)
	v_mul_f32_e32 v3, v34, v5
	v_add_f32_e32 v0, v0, v2
	v_mul_f32_e32 v2, v35, v5
	v_fmac_f32_e32 v3, v35, v4
	v_add_f32_e32 v1, v1, v29
	v_fma_f32 v2, v34, v4, -v2
	v_add_f32_e32 v5, v0, v3
	v_mul_f32_e32 v0, v37, v7
	v_add_f32_e32 v4, v1, v2
	v_fma_f32 v29, v36, v6, -v0
	ds_read2_b64 v[0:3], v38 offset0:128 offset1:160
	ds_read_b128 v[30:33], v18 offset:96
	v_mul_f32_e32 v7, v36, v7
	v_fmac_f32_e32 v7, v37, v6
	v_add_f32_e32 v29, v4, v29
	v_add_f32_e32 v34, v5, v7
	s_waitcnt lgkmcnt(0)
	v_mul_f32_e32 v35, v1, v31
	v_fma_f32 v35, v0, v30, -v35
	v_mul_f32_e32 v0, v0, v31
	v_fmac_f32_e32 v0, v1, v30
	ds_read_b128 v[4:7], v18 offset:112
	v_add_f32_e32 v1, v29, v35
	v_add_f32_e32 v0, v34, v0
	ds_read2_b64 v[34:37], v38 offset0:192 offset1:224
	v_mul_f32_e32 v29, v3, v33
	v_fma_f32 v29, v2, v32, -v29
	v_mul_f32_e32 v2, v2, v33
	v_fmac_f32_e32 v2, v3, v32
	s_waitcnt lgkmcnt(0)
	v_mul_f32_e32 v3, v34, v5
	v_add_f32_e32 v0, v0, v2
	v_mul_f32_e32 v2, v35, v5
	v_fmac_f32_e32 v3, v35, v4
	v_add_f32_e32 v1, v1, v29
	v_fma_f32 v2, v34, v4, -v2
	v_add_f32_e32 v5, v0, v3
	v_mul_f32_e32 v0, v37, v7
	v_add_u32_e32 v42, 0x1000, v20
	v_add_f32_e32 v4, v1, v2
	v_fma_f32 v29, v36, v6, -v0
	ds_read2_b64 v[0:3], v42 offset1:32
	ds_read_b128 v[30:33], v18 offset:128
	v_mul_f32_e32 v7, v36, v7
	v_fmac_f32_e32 v7, v37, v6
	ds_read_b128 v[34:37], v18 offset:144
	ds_read2_b64 v[38:41], v42 offset0:64 offset1:96
	s_waitcnt lgkmcnt(2)
	v_mul_f32_e32 v6, v1, v31
	v_add_f32_e32 v4, v4, v29
	v_fma_f32 v6, v0, v30, -v6
	v_mul_f32_e32 v0, v0, v31
	v_fmac_f32_e32 v0, v1, v30
	v_add_f32_e32 v1, v4, v6
	v_mul_f32_e32 v4, v3, v33
	v_add_f32_e32 v5, v5, v7
	v_fma_f32 v4, v2, v32, -v4
	v_mul_f32_e32 v2, v2, v33
	v_add_f32_e32 v0, v5, v0
	v_fmac_f32_e32 v2, v3, v32
	s_waitcnt lgkmcnt(0)
	v_mul_f32_e32 v3, v38, v35
	v_add_f32_e32 v0, v0, v2
	v_mul_f32_e32 v2, v39, v35
	v_fmac_f32_e32 v3, v39, v34
	v_add_f32_e32 v1, v1, v4
	v_fma_f32 v2, v38, v34, -v2
	v_add_f32_e32 v30, v0, v3
	v_mul_f32_e32 v0, v41, v37
	v_add_f32_e32 v29, v1, v2
	v_fma_f32 v31, v40, v36, -v0
	ds_read2_b64 v[0:3], v42 offset0:128 offset1:160
	ds_read_b128 v[4:7], v18 offset:160
	global_load_dwordx2 v[38:39], v[10:11], off
	v_mul_f32_e32 v32, v40, v37
	v_fmac_f32_e32 v32, v41, v36
	v_add_f32_e32 v29, v29, v31
	s_waitcnt lgkmcnt(0)
	v_mul_f32_e32 v35, v1, v5
	v_fma_f32 v35, v0, v4, -v35
	v_mul_f32_e32 v0, v0, v5
	v_add_f32_e32 v34, v30, v32
	v_fmac_f32_e32 v0, v1, v4
	ds_read_b128 v[30:33], v18 offset:176
	v_add_f32_e32 v1, v29, v35
	v_add_f32_e32 v0, v34, v0
	ds_read2_b64 v[34:37], v42 offset0:192 offset1:224
	v_mul_f32_e32 v4, v3, v7
	v_fma_f32 v4, v2, v6, -v4
	v_mul_f32_e32 v2, v2, v7
	v_fmac_f32_e32 v2, v3, v6
	s_waitcnt lgkmcnt(0)
	v_mul_f32_e32 v3, v34, v31
	v_add_f32_e32 v0, v0, v2
	v_mul_f32_e32 v2, v35, v31
	v_fmac_f32_e32 v3, v35, v30
	v_add_f32_e32 v1, v1, v4
	v_fma_f32 v2, v34, v30, -v2
	v_add_f32_e32 v30, v0, v3
	v_mul_f32_e32 v0, v37, v33
	v_add_u32_e32 v40, 0x1800, v20
	v_add_f32_e32 v29, v1, v2
	v_fma_f32 v31, v36, v32, -v0
	ds_read2_b64 v[0:3], v40 offset1:32
	ds_read_b128 v[4:7], v18 offset:192
	v_mul_f32_e32 v33, v36, v33
	v_fmac_f32_e32 v33, v37, v32
	v_add_f32_e32 v29, v29, v31
	v_add_f32_e32 v34, v30, v33
	s_waitcnt lgkmcnt(0)
	v_mul_f32_e32 v35, v1, v5
	v_fma_f32 v35, v0, v4, -v35
	v_mul_f32_e32 v0, v0, v5
	v_fmac_f32_e32 v0, v1, v4
	ds_read_b128 v[30:33], v18 offset:208
	v_add_f32_e32 v1, v29, v35
	v_add_f32_e32 v0, v34, v0
	ds_read2_b64 v[34:37], v40 offset0:64 offset1:96
	v_mul_f32_e32 v4, v3, v7
	v_fma_f32 v4, v2, v6, -v4
	v_mul_f32_e32 v2, v2, v7
	v_fmac_f32_e32 v2, v3, v6
	s_waitcnt lgkmcnt(0)
	v_mul_f32_e32 v3, v34, v31
	v_add_f32_e32 v0, v0, v2
	v_mul_f32_e32 v2, v35, v31
	v_fmac_f32_e32 v3, v35, v30
	v_add_f32_e32 v1, v1, v4
	v_fma_f32 v2, v34, v30, -v2
	v_add_f32_e32 v30, v0, v3
	v_mul_f32_e32 v0, v37, v33
	v_add_f32_e32 v29, v1, v2
	v_fma_f32 v31, v36, v32, -v0
	ds_read2_b64 v[0:3], v40 offset0:128 offset1:160
	ds_read_b128 v[4:7], v18 offset:224
	v_mul_f32_e32 v33, v36, v33
	v_fmac_f32_e32 v33, v37, v32
	v_add_f32_e32 v29, v29, v31
	v_add_f32_e32 v34, v30, v33
	s_waitcnt lgkmcnt(0)
	v_mul_f32_e32 v35, v1, v5
	v_fma_f32 v35, v0, v4, -v35
	v_mul_f32_e32 v0, v0, v5
	v_fmac_f32_e32 v0, v1, v4
	ds_read_b128 v[30:33], v18 offset:240
	v_add_f32_e32 v1, v29, v35
	v_add_f32_e32 v0, v34, v0
	ds_read2_b64 v[34:37], v40 offset0:192 offset1:224
	v_mul_f32_e32 v4, v3, v7
	v_fma_f32 v4, v2, v6, -v4
	v_mul_f32_e32 v2, v2, v7
	v_fmac_f32_e32 v2, v3, v6
	v_add_f32_e32 v0, v0, v2
	s_waitcnt lgkmcnt(0)
	v_mul_f32_e32 v2, v35, v31
	v_mul_f32_e32 v3, v34, v31
	v_add_f32_e32 v1, v1, v4
	v_fma_f32 v2, v34, v30, -v2
	v_fmac_f32_e32 v3, v35, v30
	v_add_f32_e32 v1, v1, v2
	v_add_f32_e32 v2, v0, v3
	v_mul_f32_e32 v3, v36, v33
	v_mul_f32_e32 v0, v37, v33
	v_fmac_f32_e32 v3, v37, v32
	v_fma_f32 v0, v36, v32, -v0
	v_add_f32_e32 v2, v2, v3
	v_add_f32_e32 v0, v1, v0
	v_pk_mul_f32 v[2:3], s[10:11], v[2:3] op_sel_hi:[1,0]
	v_pk_fma_f32 v[4:5], s[10:11], v[0:1], v[2:3] op_sel:[0,0,1] op_sel_hi:[1,1,0] neg_lo:[0,0,1] neg_hi:[0,0,1]
	v_pk_fma_f32 v[0:1], s[10:11], v[0:1], v[2:3] op_sel:[0,0,1] op_sel_hi:[1,0,0]
	v_mov_b32_e32 v5, v1
	s_waitcnt vmcnt(0)
	v_pk_add_f32 v[0:1], v[38:39], v[4:5]
	global_store_dwordx2 v[10:11], v[0:1], off
	s_branch .LBB25_6
.LBB25_21:
	s_endpgm
	.section	.rodata,"a",@progbits
	.p2align	6, 0x0
	.amdhsa_kernel _ZL24rocblas_symm_hemm_kernelILb1ELb1ELi32EPK19rocblas_complex_numIfES3_PS1_EvbiiT2_T3_lllS6_lllT4_llli
		.amdhsa_group_segment_fixed_size 16384
		.amdhsa_private_segment_fixed_size 0
		.amdhsa_kernarg_size 384
		.amdhsa_user_sgpr_count 6
		.amdhsa_user_sgpr_private_segment_buffer 1
		.amdhsa_user_sgpr_dispatch_ptr 0
		.amdhsa_user_sgpr_queue_ptr 0
		.amdhsa_user_sgpr_kernarg_segment_ptr 1
		.amdhsa_user_sgpr_dispatch_id 0
		.amdhsa_user_sgpr_flat_scratch_init 0
		.amdhsa_user_sgpr_kernarg_preload_length 0
		.amdhsa_user_sgpr_kernarg_preload_offset 0
		.amdhsa_user_sgpr_private_segment_size 0
		.amdhsa_uses_dynamic_stack 0
		.amdhsa_system_sgpr_private_segment_wavefront_offset 0
		.amdhsa_system_sgpr_workgroup_id_x 1
		.amdhsa_system_sgpr_workgroup_id_y 1
		.amdhsa_system_sgpr_workgroup_id_z 1
		.amdhsa_system_sgpr_workgroup_info 0
		.amdhsa_system_vgpr_workitem_id 1
		.amdhsa_next_free_vgpr 46
		.amdhsa_next_free_sgpr 44
		.amdhsa_accum_offset 48
		.amdhsa_reserve_vcc 1
		.amdhsa_reserve_flat_scratch 0
		.amdhsa_float_round_mode_32 0
		.amdhsa_float_round_mode_16_64 0
		.amdhsa_float_denorm_mode_32 3
		.amdhsa_float_denorm_mode_16_64 3
		.amdhsa_dx10_clamp 1
		.amdhsa_ieee_mode 1
		.amdhsa_fp16_overflow 0
		.amdhsa_tg_split 0
		.amdhsa_exception_fp_ieee_invalid_op 0
		.amdhsa_exception_fp_denorm_src 0
		.amdhsa_exception_fp_ieee_div_zero 0
		.amdhsa_exception_fp_ieee_overflow 0
		.amdhsa_exception_fp_ieee_underflow 0
		.amdhsa_exception_fp_ieee_inexact 0
		.amdhsa_exception_int_div_zero 0
	.end_amdhsa_kernel
	.section	.text._ZL24rocblas_symm_hemm_kernelILb1ELb1ELi32EPK19rocblas_complex_numIfES3_PS1_EvbiiT2_T3_lllS6_lllT4_llli,"axG",@progbits,_ZL24rocblas_symm_hemm_kernelILb1ELb1ELi32EPK19rocblas_complex_numIfES3_PS1_EvbiiT2_T3_lllS6_lllT4_llli,comdat
.Lfunc_end25:
	.size	_ZL24rocblas_symm_hemm_kernelILb1ELb1ELi32EPK19rocblas_complex_numIfES3_PS1_EvbiiT2_T3_lllS6_lllT4_llli, .Lfunc_end25-_ZL24rocblas_symm_hemm_kernelILb1ELb1ELi32EPK19rocblas_complex_numIfES3_PS1_EvbiiT2_T3_lllS6_lllT4_llli
                                        ; -- End function
	.section	.AMDGPU.csdata,"",@progbits
; Kernel info:
; codeLenInByte = 2276
; NumSgprs: 48
; NumVgprs: 46
; NumAgprs: 0
; TotalNumVgprs: 46
; ScratchSize: 0
; MemoryBound: 0
; FloatMode: 240
; IeeeMode: 1
; LDSByteSize: 16384 bytes/workgroup (compile time only)
; SGPRBlocks: 5
; VGPRBlocks: 5
; NumSGPRsForWavesPerEU: 48
; NumVGPRsForWavesPerEU: 46
; AccumOffset: 48
; Occupancy: 8
; WaveLimiterHint : 0
; COMPUTE_PGM_RSRC2:SCRATCH_EN: 0
; COMPUTE_PGM_RSRC2:USER_SGPR: 6
; COMPUTE_PGM_RSRC2:TRAP_HANDLER: 0
; COMPUTE_PGM_RSRC2:TGID_X_EN: 1
; COMPUTE_PGM_RSRC2:TGID_Y_EN: 1
; COMPUTE_PGM_RSRC2:TGID_Z_EN: 1
; COMPUTE_PGM_RSRC2:TIDIG_COMP_CNT: 1
; COMPUTE_PGM_RSRC3_GFX90A:ACCUM_OFFSET: 11
; COMPUTE_PGM_RSRC3_GFX90A:TG_SPLIT: 0
	.section	.text._ZL24rocblas_symm_hemm_kernelILb1ELb0ELi32E19rocblas_complex_numIfEPKS1_PS1_EvbiiT2_T3_lllS6_lllT4_llli,"axG",@progbits,_ZL24rocblas_symm_hemm_kernelILb1ELb0ELi32E19rocblas_complex_numIfEPKS1_PS1_EvbiiT2_T3_lllS6_lllT4_llli,comdat
	.globl	_ZL24rocblas_symm_hemm_kernelILb1ELb0ELi32E19rocblas_complex_numIfEPKS1_PS1_EvbiiT2_T3_lllS6_lllT4_llli ; -- Begin function _ZL24rocblas_symm_hemm_kernelILb1ELb0ELi32E19rocblas_complex_numIfEPKS1_PS1_EvbiiT2_T3_lllS6_lllT4_llli
	.p2align	8
	.type	_ZL24rocblas_symm_hemm_kernelILb1ELb0ELi32E19rocblas_complex_numIfEPKS1_PS1_EvbiiT2_T3_lllS6_lllT4_llli,@function
_ZL24rocblas_symm_hemm_kernelILb1ELb0ELi32E19rocblas_complex_numIfEPKS1_PS1_EvbiiT2_T3_lllS6_lllT4_llli: ; @_ZL24rocblas_symm_hemm_kernelILb1ELb0ELi32E19rocblas_complex_numIfEPKS1_PS1_EvbiiT2_T3_lllS6_lllT4_llli
; %bb.0:
	s_load_dwordx4 s[28:31], s[4:5], 0x0
	s_load_dword s11, s[4:5], 0x10
	s_waitcnt lgkmcnt(0)
	v_cmp_eq_f32_e64 s[0:1], s31, 0
	v_cmp_eq_f32_e64 s[2:3], s11, 0
	s_and_b64 s[0:1], s[0:1], s[2:3]
	s_and_b64 vcc, exec, s[0:1]
	s_cbranch_vccnz .LBB26_21
; %bb.1:
	s_add_i32 s0, s30, -1
	s_ashr_i32 s1, s0, 31
	s_lshr_b32 s1, s1, 27
	s_add_i32 s0, s0, s1
	s_ashr_i32 s33, s0, 5
	s_cmp_gt_i32 s7, s33
	s_cbranch_scc1 .LBB26_21
; %bb.2:
	s_load_dwordx16 s[12:27], s[4:5], 0x18
	s_load_dwordx8 s[36:43], s[4:5], 0x58
	v_and_b32_e32 v14, 0x3ff, v0
	v_lshl_add_u32 v8, s6, 5, v14
	v_ashrrev_i32_e32 v9, 31, v8
	s_waitcnt lgkmcnt(0)
	s_mul_i32 s1, s8, s27
	s_mul_hi_u32 s2, s8, s26
	s_mul_i32 s0, s8, s26
	s_add_i32 s1, s2, s1
	s_lshl_b64 s[0:1], s[0:1], 3
	s_add_u32 s2, s20, s0
	s_addc_u32 s3, s21, s1
	s_lshl_b64 s[0:1], s[22:23], 3
	s_add_u32 s22, s2, s0
	s_addc_u32 s23, s3, s1
	s_bitcmp1_b32 s28, 0
	s_mul_i32 s2, s8, s43
	s_mul_hi_u32 s3, s8, s42
	s_cselect_b64 s[0:1], -1, 0
	s_add_i32 s3, s3, s2
	s_mul_i32 s2, s8, s42
	s_lshl_b64 s[2:3], s[2:3], 3
	s_add_u32 s9, s36, s2
	s_addc_u32 s20, s37, s3
	s_lshl_b64 s[2:3], s[38:39], 3
	s_add_u32 s9, s9, s2
	s_addc_u32 s20, s20, s3
	s_mul_i32 s2, s8, s19
	s_mul_hi_u32 s3, s8, s18
	s_add_i32 s3, s3, s2
	s_mul_i32 s2, s8, s18
	s_lshl_b64 s[2:3], s[2:3], 3
	s_add_u32 s8, s12, s2
	s_addc_u32 s12, s13, s3
	s_lshl_b64 s[2:3], s[14:15], 3
	s_add_u32 s8, s8, s2
	s_addc_u32 s12, s12, s3
	v_bfe_u32 v15, v0, 10, 10
	v_lshlrev_b64 v[0:1], 3, v[8:9]
	v_mov_b32_e32 v2, s12
	v_add_co_u32_e32 v16, vcc, s8, v0
	v_addc_co_u32_e32 v17, vcc, v2, v1, vcc
	v_mul_lo_u32 v4, v9, s16
	v_mul_lo_u32 v5, v8, s17
	v_mad_u64_u32 v[2:3], s[2:3], v8, s16, 0
	v_add3_u32 v3, v3, v5, v4
	v_lshlrev_b64 v[2:3], 3, v[2:3]
	v_mov_b32_e32 v4, s12
	v_add_co_u32_e32 v9, vcc, s8, v2
	v_addc_co_u32_e32 v18, vcc, v4, v3, vcc
	v_lshlrev_b32_e32 v4, 3, v15
	v_lshlrev_b32_e32 v19, 8, v14
	s_load_dword s6, s[4:5], 0x84
	v_add_u32_e32 v20, v19, v4
	v_or_b32_e32 v21, 0x2000, v4
	v_mov_b32_e32 v4, s20
	v_add_co_u32_e32 v23, vcc, s9, v0
	v_addc_co_u32_e32 v24, vcc, v4, v1, vcc
	s_cmp_gt_i32 s29, 0
	v_add_co_u32_e32 v10, vcc, v16, v2
	s_mov_b32 s10, s31
	v_add_u32_e32 v22, v21, v19
	v_cmp_gt_i32_e64 s[2:3], s29, v8
	v_addc_co_u32_e32 v11, vcc, v17, v3, vcc
	s_cselect_b64 s[12:13], -1, 0
	s_branch .LBB26_4
.LBB26_3:                               ;   in Loop: Header=BB26_4 Depth=1
	s_waitcnt lgkmcnt(0)
	s_add_i32 s7, s7, s6
	s_cmp_gt_i32 s7, s33
	s_cbranch_scc1 .LBB26_21
.LBB26_4:                               ; =>This Loop Header: Depth=1
                                        ;     Child Loop BB26_7 Depth 2
	s_andn2_b64 vcc, exec, s[12:13]
	s_cbranch_vccnz .LBB26_3
; %bb.5:                                ;   in Loop: Header=BB26_4 Depth=1
	v_lshl_add_u32 v2, s7, 5, v15
	v_ashrrev_i32_e32 v3, 31, v2
	v_mul_lo_u32 v4, v3, s24
	v_mul_lo_u32 v5, v2, s25
	v_mad_u64_u32 v[0:1], s[4:5], v2, s24, 0
	v_add3_u32 v1, v1, v5, v4
	v_lshlrev_b64 v[0:1], 3, v[0:1]
	v_mov_b32_e32 v4, s23
	v_add_co_u32_e64 v25, s[4:5], s22, v0
	v_addc_co_u32_e64 v26, s[4:5], v4, v1, s[4:5]
	v_mul_lo_u32 v3, v3, s40
	v_mul_lo_u32 v4, v2, s41
	v_mad_u64_u32 v[0:1], s[4:5], v2, s40, 0
	v_add3_u32 v1, v1, v4, v3
	v_lshlrev_b64 v[0:1], 3, v[0:1]
	v_cmp_gt_i32_e32 vcc, s30, v2
	v_add_co_u32_e64 v12, s[4:5], v23, v0
	s_and_b64 s[14:15], s[2:3], vcc
	v_addc_co_u32_e64 v13, s[4:5], v24, v1, s[4:5]
	s_mov_b32 s26, 0
	s_branch .LBB26_7
.LBB26_6:                               ;   in Loop: Header=BB26_7 Depth=2
	s_or_b64 exec, exec, s[4:5]
	s_add_i32 s26, s26, 32
	s_cmp_ge_i32 s26, s29
	s_barrier
	s_cbranch_scc1 .LBB26_3
.LBB26_7:                               ;   Parent Loop BB26_4 Depth=1
                                        ; =>  This Inner Loop Header: Depth=2
	v_add_u32_e32 v4, s26, v15
	v_cndmask_b32_e64 v0, v4, v8, s[0:1]
	v_cndmask_b32_e64 v1, v8, v4, s[0:1]
	v_cmp_gt_i32_e64 s[8:9], v0, v1
	v_cmp_le_i32_e64 s[4:5], v0, v1
	v_cndmask_b32_e64 v0, v8, v4, s[8:9]
	v_cndmask_b32_e64 v1, v4, v8, s[8:9]
	v_max_i32_e32 v0, v0, v1
	v_cmp_gt_i32_e64 s[8:9], s29, v0
	v_mov_b32_e32 v0, 0
	v_mov_b32_e32 v2, 0
	;; [unrolled: 1-line block ×3, first 2 shown]
	s_and_saveexec_b64 s[18:19], s[8:9]
	s_cbranch_execz .LBB26_17
; %bb.8:                                ;   in Loop: Header=BB26_7 Depth=2
                                        ; implicit-def: $vgpr3
	s_and_saveexec_b64 s[8:9], s[4:5]
	s_xor_b64 s[8:9], exec, s[8:9]
	s_cbranch_execz .LBB26_14
; %bb.9:                                ;   in Loop: Header=BB26_7 Depth=2
	v_cmp_ne_u32_e64 s[4:5], v4, v8
                                        ; implicit-def: $vgpr3
	s_and_saveexec_b64 s[20:21], s[4:5]
	s_xor_b64 s[20:21], exec, s[20:21]
	s_cbranch_execz .LBB26_11
; %bb.10:                               ;   in Loop: Header=BB26_7 Depth=2
	v_ashrrev_i32_e32 v1, 31, v4
	v_mul_lo_u32 v5, v4, s17
	v_mul_lo_u32 v1, v1, s16
	v_mad_u64_u32 v[2:3], s[4:5], v4, s16, 0
	v_add3_u32 v3, v3, v5, v1
	v_lshlrev_b64 v[2:3], 3, v[2:3]
	v_add_co_u32_e64 v2, s[4:5], v16, v2
	v_addc_co_u32_e64 v3, s[4:5], v17, v3, s[4:5]
	global_load_dwordx2 v[2:3], v[2:3], off
.LBB26_11:                              ;   in Loop: Header=BB26_7 Depth=2
	s_andn2_saveexec_b64 s[4:5], s[20:21]
	s_cbranch_execz .LBB26_13
; %bb.12:                               ;   in Loop: Header=BB26_7 Depth=2
	global_load_dword v2, v[10:11], off
	s_waitcnt vmcnt(1)
	v_mov_b32_e32 v3, 0
.LBB26_13:                              ;   in Loop: Header=BB26_7 Depth=2
	s_or_b64 exec, exec, s[4:5]
                                        ; implicit-def: $vgpr4
.LBB26_14:                              ;   in Loop: Header=BB26_7 Depth=2
	s_andn2_saveexec_b64 s[8:9], s[8:9]
	s_cbranch_execz .LBB26_16
; %bb.15:                               ;   in Loop: Header=BB26_7 Depth=2
	v_ashrrev_i32_e32 v5, 31, v4
	s_waitcnt vmcnt(0)
	v_lshlrev_b64 v[2:3], 3, v[4:5]
	v_add_co_u32_e64 v2, s[4:5], v9, v2
	v_addc_co_u32_e64 v3, s[4:5], v18, v3, s[4:5]
	global_load_dwordx2 v[2:3], v[2:3], off
	s_waitcnt vmcnt(0)
	v_xor_b32_e32 v3, 0x80000000, v3
.LBB26_16:                              ;   in Loop: Header=BB26_7 Depth=2
	s_or_b64 exec, exec, s[8:9]
.LBB26_17:                              ;   in Loop: Header=BB26_7 Depth=2
	s_or_b64 exec, exec, s[18:19]
	s_waitcnt vmcnt(0)
	ds_write_b64 v20, v[2:3]
	v_add_u32_e32 v2, s26, v14
	v_cmp_gt_i32_e64 s[4:5], s29, v2
	s_and_b64 s[4:5], s[4:5], vcc
	v_mov_b32_e32 v1, 0
	s_and_saveexec_b64 s[8:9], s[4:5]
	s_cbranch_execz .LBB26_19
; %bb.18:                               ;   in Loop: Header=BB26_7 Depth=2
	v_ashrrev_i32_e32 v3, 31, v2
	v_lshlrev_b64 v[0:1], 3, v[2:3]
	v_add_co_u32_e64 v0, s[4:5], v25, v0
	v_addc_co_u32_e64 v1, s[4:5], v26, v1, s[4:5]
	global_load_dwordx2 v[0:1], v[0:1], off
.LBB26_19:                              ;   in Loop: Header=BB26_7 Depth=2
	s_or_b64 exec, exec, s[8:9]
	s_waitcnt vmcnt(0)
	ds_write_b64 v22, v[0:1]
	s_waitcnt lgkmcnt(0)
	s_barrier
	s_and_saveexec_b64 s[4:5], s[14:15]
	s_cbranch_execz .LBB26_6
; %bb.20:                               ;   in Loop: Header=BB26_7 Depth=2
	ds_read2_b64 v[0:3], v21 offset1:32
	ds_read_b128 v[4:7], v19
	ds_read_b128 v[28:31], v19 offset:16
	ds_read_b128 v[32:35], v19 offset:32
	;; [unrolled: 1-line block ×3, first 2 shown]
	ds_read2_b64 v[40:43], v21 offset0:64 offset1:96
	s_waitcnt lgkmcnt(4)
	v_mul_f32_e32 v27, v1, v5
	v_fma_f32 v27, v0, v4, -v27
	v_mul_f32_e32 v0, v0, v5
	v_fmac_f32_e32 v0, v1, v4
	v_mul_f32_e32 v4, v3, v7
	v_fma_f32 v4, v2, v6, -v4
	v_mul_f32_e32 v2, v2, v7
	v_add_f32_e32 v0, 0, v0
	v_fmac_f32_e32 v2, v3, v6
	s_waitcnt lgkmcnt(0)
	v_mul_f32_e32 v3, v40, v29
	v_add_f32_e32 v1, 0, v27
	v_add_f32_e32 v0, v0, v2
	v_mul_f32_e32 v2, v41, v29
	v_fmac_f32_e32 v3, v41, v28
	v_add_f32_e32 v1, v1, v4
	v_fma_f32 v2, v40, v28, -v2
	v_add_f32_e32 v5, v0, v3
	v_mul_f32_e32 v0, v43, v31
	v_add_f32_e32 v4, v1, v2
	v_fma_f32 v6, v42, v30, -v0
	ds_read2_b64 v[0:3], v21 offset0:128 offset1:160
	v_mul_f32_e32 v7, v42, v31
	v_add_f32_e32 v4, v4, v6
	v_fmac_f32_e32 v7, v43, v30
	v_add_f32_e32 v5, v5, v7
	s_waitcnt lgkmcnt(0)
	v_mul_f32_e32 v6, v1, v33
	v_fma_f32 v6, v0, v32, -v6
	v_mul_f32_e32 v0, v0, v33
	v_fmac_f32_e32 v0, v1, v32
	v_add_f32_e32 v1, v4, v6
	v_mul_f32_e32 v4, v3, v35
	v_add_f32_e32 v0, v5, v0
	v_fma_f32 v27, v2, v34, -v4
	ds_read2_b64 v[4:7], v21 offset0:192 offset1:224
	v_mul_f32_e32 v2, v2, v35
	v_fmac_f32_e32 v2, v3, v34
	v_add_f32_e32 v0, v0, v2
	v_add_f32_e32 v1, v1, v27
	s_waitcnt lgkmcnt(0)
	v_mul_f32_e32 v3, v4, v37
	v_mul_f32_e32 v2, v5, v37
	v_fmac_f32_e32 v3, v5, v36
	v_fma_f32 v2, v4, v36, -v2
	v_add_f32_e32 v5, v0, v3
	v_mul_f32_e32 v0, v7, v39
	v_add_u32_e32 v36, 0x800, v21
	v_add_f32_e32 v4, v1, v2
	v_fma_f32 v27, v6, v38, -v0
	ds_read2_b64 v[0:3], v36 offset1:32
	ds_read_b128 v[28:31], v19 offset:64
	v_mul_f32_e32 v6, v6, v39
	v_fmac_f32_e32 v6, v7, v38
	v_add_f32_e32 v27, v4, v27
	v_add_f32_e32 v32, v5, v6
	s_waitcnt lgkmcnt(0)
	v_mul_f32_e32 v33, v1, v29
	v_fma_f32 v33, v0, v28, -v33
	v_mul_f32_e32 v0, v0, v29
	v_fmac_f32_e32 v0, v1, v28
	ds_read_b128 v[4:7], v19 offset:80
	v_add_f32_e32 v1, v27, v33
	v_add_f32_e32 v0, v32, v0
	ds_read2_b64 v[32:35], v36 offset0:64 offset1:96
	v_mul_f32_e32 v27, v3, v31
	v_fma_f32 v27, v2, v30, -v27
	v_mul_f32_e32 v2, v2, v31
	v_fmac_f32_e32 v2, v3, v30
	s_waitcnt lgkmcnt(0)
	v_mul_f32_e32 v3, v32, v5
	v_add_f32_e32 v0, v0, v2
	v_mul_f32_e32 v2, v33, v5
	v_fmac_f32_e32 v3, v33, v4
	v_add_f32_e32 v1, v1, v27
	v_fma_f32 v2, v32, v4, -v2
	v_add_f32_e32 v5, v0, v3
	v_mul_f32_e32 v0, v35, v7
	v_add_f32_e32 v4, v1, v2
	v_fma_f32 v27, v34, v6, -v0
	ds_read2_b64 v[0:3], v36 offset0:128 offset1:160
	ds_read_b128 v[28:31], v19 offset:96
	v_mul_f32_e32 v7, v34, v7
	v_fmac_f32_e32 v7, v35, v6
	v_add_f32_e32 v27, v4, v27
	v_add_f32_e32 v32, v5, v7
	s_waitcnt lgkmcnt(0)
	v_mul_f32_e32 v33, v1, v29
	v_fma_f32 v33, v0, v28, -v33
	v_mul_f32_e32 v0, v0, v29
	v_fmac_f32_e32 v0, v1, v28
	ds_read_b128 v[4:7], v19 offset:112
	v_add_f32_e32 v1, v27, v33
	v_add_f32_e32 v0, v32, v0
	ds_read2_b64 v[32:35], v36 offset0:192 offset1:224
	v_mul_f32_e32 v27, v3, v31
	v_fma_f32 v27, v2, v30, -v27
	v_mul_f32_e32 v2, v2, v31
	v_fmac_f32_e32 v2, v3, v30
	s_waitcnt lgkmcnt(0)
	v_mul_f32_e32 v3, v32, v5
	v_add_f32_e32 v0, v0, v2
	v_mul_f32_e32 v2, v33, v5
	v_fmac_f32_e32 v3, v33, v4
	v_add_f32_e32 v1, v1, v27
	v_fma_f32 v2, v32, v4, -v2
	v_add_f32_e32 v5, v0, v3
	v_mul_f32_e32 v0, v35, v7
	v_add_u32_e32 v40, 0x1000, v21
	v_add_f32_e32 v4, v1, v2
	v_fma_f32 v27, v34, v6, -v0
	ds_read2_b64 v[0:3], v40 offset1:32
	ds_read_b128 v[28:31], v19 offset:128
	v_mul_f32_e32 v7, v34, v7
	v_fmac_f32_e32 v7, v35, v6
	ds_read_b128 v[32:35], v19 offset:144
	ds_read2_b64 v[36:39], v40 offset0:64 offset1:96
	s_waitcnt lgkmcnt(2)
	v_mul_f32_e32 v6, v1, v29
	v_add_f32_e32 v4, v4, v27
	v_fma_f32 v6, v0, v28, -v6
	v_mul_f32_e32 v0, v0, v29
	v_fmac_f32_e32 v0, v1, v28
	v_add_f32_e32 v1, v4, v6
	v_mul_f32_e32 v4, v3, v31
	v_add_f32_e32 v5, v5, v7
	v_fma_f32 v4, v2, v30, -v4
	v_mul_f32_e32 v2, v2, v31
	v_add_f32_e32 v0, v5, v0
	v_fmac_f32_e32 v2, v3, v30
	s_waitcnt lgkmcnt(0)
	v_mul_f32_e32 v3, v36, v33
	v_add_f32_e32 v0, v0, v2
	v_mul_f32_e32 v2, v37, v33
	v_fmac_f32_e32 v3, v37, v32
	v_add_f32_e32 v1, v1, v4
	v_fma_f32 v2, v36, v32, -v2
	v_add_f32_e32 v28, v0, v3
	v_mul_f32_e32 v0, v39, v35
	v_add_f32_e32 v27, v1, v2
	v_fma_f32 v29, v38, v34, -v0
	ds_read2_b64 v[0:3], v40 offset0:128 offset1:160
	ds_read_b128 v[4:7], v19 offset:160
	global_load_dwordx2 v[36:37], v[12:13], off
	v_mul_f32_e32 v30, v38, v35
	v_fmac_f32_e32 v30, v39, v34
	v_add_f32_e32 v27, v27, v29
	s_waitcnt lgkmcnt(0)
	v_mul_f32_e32 v33, v1, v5
	v_fma_f32 v33, v0, v4, -v33
	v_mul_f32_e32 v0, v0, v5
	v_add_f32_e32 v32, v28, v30
	v_fmac_f32_e32 v0, v1, v4
	ds_read_b128 v[28:31], v19 offset:176
	v_add_f32_e32 v1, v27, v33
	v_add_f32_e32 v0, v32, v0
	ds_read2_b64 v[32:35], v40 offset0:192 offset1:224
	v_mul_f32_e32 v4, v3, v7
	v_fma_f32 v4, v2, v6, -v4
	v_mul_f32_e32 v2, v2, v7
	v_fmac_f32_e32 v2, v3, v6
	s_waitcnt lgkmcnt(0)
	v_mul_f32_e32 v3, v32, v29
	v_add_f32_e32 v0, v0, v2
	v_mul_f32_e32 v2, v33, v29
	v_fmac_f32_e32 v3, v33, v28
	v_add_f32_e32 v1, v1, v4
	v_fma_f32 v2, v32, v28, -v2
	v_add_f32_e32 v28, v0, v3
	v_mul_f32_e32 v0, v35, v31
	v_add_u32_e32 v38, 0x1800, v21
	v_add_f32_e32 v27, v1, v2
	v_fma_f32 v29, v34, v30, -v0
	ds_read2_b64 v[0:3], v38 offset1:32
	ds_read_b128 v[4:7], v19 offset:192
	v_mul_f32_e32 v31, v34, v31
	v_fmac_f32_e32 v31, v35, v30
	v_add_f32_e32 v27, v27, v29
	v_add_f32_e32 v32, v28, v31
	s_waitcnt lgkmcnt(0)
	v_mul_f32_e32 v33, v1, v5
	v_fma_f32 v33, v0, v4, -v33
	v_mul_f32_e32 v0, v0, v5
	v_fmac_f32_e32 v0, v1, v4
	ds_read_b128 v[28:31], v19 offset:208
	v_add_f32_e32 v1, v27, v33
	v_add_f32_e32 v0, v32, v0
	ds_read2_b64 v[32:35], v38 offset0:64 offset1:96
	v_mul_f32_e32 v4, v3, v7
	v_fma_f32 v4, v2, v6, -v4
	v_mul_f32_e32 v2, v2, v7
	v_fmac_f32_e32 v2, v3, v6
	s_waitcnt lgkmcnt(0)
	v_mul_f32_e32 v3, v32, v29
	v_add_f32_e32 v0, v0, v2
	v_mul_f32_e32 v2, v33, v29
	v_fmac_f32_e32 v3, v33, v28
	v_add_f32_e32 v1, v1, v4
	v_fma_f32 v2, v32, v28, -v2
	v_add_f32_e32 v28, v0, v3
	v_mul_f32_e32 v0, v35, v31
	v_add_f32_e32 v27, v1, v2
	v_fma_f32 v29, v34, v30, -v0
	ds_read2_b64 v[0:3], v38 offset0:128 offset1:160
	ds_read_b128 v[4:7], v19 offset:224
	v_mul_f32_e32 v31, v34, v31
	v_fmac_f32_e32 v31, v35, v30
	v_add_f32_e32 v27, v27, v29
	v_add_f32_e32 v32, v28, v31
	s_waitcnt lgkmcnt(0)
	v_mul_f32_e32 v33, v1, v5
	v_fma_f32 v33, v0, v4, -v33
	v_mul_f32_e32 v0, v0, v5
	v_fmac_f32_e32 v0, v1, v4
	ds_read_b128 v[28:31], v19 offset:240
	v_add_f32_e32 v1, v27, v33
	v_add_f32_e32 v0, v32, v0
	ds_read2_b64 v[32:35], v38 offset0:192 offset1:224
	v_mul_f32_e32 v4, v3, v7
	v_fma_f32 v4, v2, v6, -v4
	v_mul_f32_e32 v2, v2, v7
	v_fmac_f32_e32 v2, v3, v6
	v_add_f32_e32 v0, v0, v2
	s_waitcnt lgkmcnt(0)
	v_mul_f32_e32 v2, v33, v29
	v_mul_f32_e32 v3, v32, v29
	v_add_f32_e32 v1, v1, v4
	v_fma_f32 v2, v32, v28, -v2
	v_fmac_f32_e32 v3, v33, v28
	v_add_f32_e32 v1, v1, v2
	v_add_f32_e32 v2, v0, v3
	v_mul_f32_e32 v3, v34, v31
	v_mul_f32_e32 v0, v35, v31
	v_fmac_f32_e32 v3, v35, v30
	v_fma_f32 v0, v34, v30, -v0
	v_add_f32_e32 v2, v2, v3
	v_add_f32_e32 v0, v1, v0
	v_pk_mul_f32 v[2:3], s[10:11], v[2:3] op_sel_hi:[1,0]
	v_pk_fma_f32 v[4:5], s[10:11], v[0:1], v[2:3] op_sel:[0,0,1] op_sel_hi:[1,1,0] neg_lo:[0,0,1] neg_hi:[0,0,1]
	v_pk_fma_f32 v[0:1], s[10:11], v[0:1], v[2:3] op_sel:[0,0,1] op_sel_hi:[1,0,0]
	v_mov_b32_e32 v5, v1
	s_waitcnt vmcnt(0)
	v_pk_add_f32 v[0:1], v[36:37], v[4:5]
	global_store_dwordx2 v[12:13], v[0:1], off
	s_branch .LBB26_6
.LBB26_21:
	s_endpgm
	.section	.rodata,"a",@progbits
	.p2align	6, 0x0
	.amdhsa_kernel _ZL24rocblas_symm_hemm_kernelILb1ELb0ELi32E19rocblas_complex_numIfEPKS1_PS1_EvbiiT2_T3_lllS6_lllT4_llli
		.amdhsa_group_segment_fixed_size 16384
		.amdhsa_private_segment_fixed_size 0
		.amdhsa_kernarg_size 384
		.amdhsa_user_sgpr_count 6
		.amdhsa_user_sgpr_private_segment_buffer 1
		.amdhsa_user_sgpr_dispatch_ptr 0
		.amdhsa_user_sgpr_queue_ptr 0
		.amdhsa_user_sgpr_kernarg_segment_ptr 1
		.amdhsa_user_sgpr_dispatch_id 0
		.amdhsa_user_sgpr_flat_scratch_init 0
		.amdhsa_user_sgpr_kernarg_preload_length 0
		.amdhsa_user_sgpr_kernarg_preload_offset 0
		.amdhsa_user_sgpr_private_segment_size 0
		.amdhsa_uses_dynamic_stack 0
		.amdhsa_system_sgpr_private_segment_wavefront_offset 0
		.amdhsa_system_sgpr_workgroup_id_x 1
		.amdhsa_system_sgpr_workgroup_id_y 1
		.amdhsa_system_sgpr_workgroup_id_z 1
		.amdhsa_system_sgpr_workgroup_info 0
		.amdhsa_system_vgpr_workitem_id 1
		.amdhsa_next_free_vgpr 44
		.amdhsa_next_free_sgpr 44
		.amdhsa_accum_offset 44
		.amdhsa_reserve_vcc 1
		.amdhsa_reserve_flat_scratch 0
		.amdhsa_float_round_mode_32 0
		.amdhsa_float_round_mode_16_64 0
		.amdhsa_float_denorm_mode_32 3
		.amdhsa_float_denorm_mode_16_64 3
		.amdhsa_dx10_clamp 1
		.amdhsa_ieee_mode 1
		.amdhsa_fp16_overflow 0
		.amdhsa_tg_split 0
		.amdhsa_exception_fp_ieee_invalid_op 0
		.amdhsa_exception_fp_denorm_src 0
		.amdhsa_exception_fp_ieee_div_zero 0
		.amdhsa_exception_fp_ieee_overflow 0
		.amdhsa_exception_fp_ieee_underflow 0
		.amdhsa_exception_fp_ieee_inexact 0
		.amdhsa_exception_int_div_zero 0
	.end_amdhsa_kernel
	.section	.text._ZL24rocblas_symm_hemm_kernelILb1ELb0ELi32E19rocblas_complex_numIfEPKS1_PS1_EvbiiT2_T3_lllS6_lllT4_llli,"axG",@progbits,_ZL24rocblas_symm_hemm_kernelILb1ELb0ELi32E19rocblas_complex_numIfEPKS1_PS1_EvbiiT2_T3_lllS6_lllT4_llli,comdat
.Lfunc_end26:
	.size	_ZL24rocblas_symm_hemm_kernelILb1ELb0ELi32E19rocblas_complex_numIfEPKS1_PS1_EvbiiT2_T3_lllS6_lllT4_llli, .Lfunc_end26-_ZL24rocblas_symm_hemm_kernelILb1ELb0ELi32E19rocblas_complex_numIfEPKS1_PS1_EvbiiT2_T3_lllS6_lllT4_llli
                                        ; -- End function
	.section	.AMDGPU.csdata,"",@progbits
; Kernel info:
; codeLenInByte = 2280
; NumSgprs: 48
; NumVgprs: 44
; NumAgprs: 0
; TotalNumVgprs: 44
; ScratchSize: 0
; MemoryBound: 0
; FloatMode: 240
; IeeeMode: 1
; LDSByteSize: 16384 bytes/workgroup (compile time only)
; SGPRBlocks: 5
; VGPRBlocks: 5
; NumSGPRsForWavesPerEU: 48
; NumVGPRsForWavesPerEU: 44
; AccumOffset: 44
; Occupancy: 8
; WaveLimiterHint : 0
; COMPUTE_PGM_RSRC2:SCRATCH_EN: 0
; COMPUTE_PGM_RSRC2:USER_SGPR: 6
; COMPUTE_PGM_RSRC2:TRAP_HANDLER: 0
; COMPUTE_PGM_RSRC2:TGID_X_EN: 1
; COMPUTE_PGM_RSRC2:TGID_Y_EN: 1
; COMPUTE_PGM_RSRC2:TGID_Z_EN: 1
; COMPUTE_PGM_RSRC2:TIDIG_COMP_CNT: 1
; COMPUTE_PGM_RSRC3_GFX90A:ACCUM_OFFSET: 10
; COMPUTE_PGM_RSRC3_GFX90A:TG_SPLIT: 0
	.section	.text._ZL24rocblas_symm_hemm_kernelILb1ELb1ELi32E19rocblas_complex_numIfEPKS1_PS1_EvbiiT2_T3_lllS6_lllT4_llli,"axG",@progbits,_ZL24rocblas_symm_hemm_kernelILb1ELb1ELi32E19rocblas_complex_numIfEPKS1_PS1_EvbiiT2_T3_lllS6_lllT4_llli,comdat
	.globl	_ZL24rocblas_symm_hemm_kernelILb1ELb1ELi32E19rocblas_complex_numIfEPKS1_PS1_EvbiiT2_T3_lllS6_lllT4_llli ; -- Begin function _ZL24rocblas_symm_hemm_kernelILb1ELb1ELi32E19rocblas_complex_numIfEPKS1_PS1_EvbiiT2_T3_lllS6_lllT4_llli
	.p2align	8
	.type	_ZL24rocblas_symm_hemm_kernelILb1ELb1ELi32E19rocblas_complex_numIfEPKS1_PS1_EvbiiT2_T3_lllS6_lllT4_llli,@function
_ZL24rocblas_symm_hemm_kernelILb1ELb1ELi32E19rocblas_complex_numIfEPKS1_PS1_EvbiiT2_T3_lllS6_lllT4_llli: ; @_ZL24rocblas_symm_hemm_kernelILb1ELb1ELi32E19rocblas_complex_numIfEPKS1_PS1_EvbiiT2_T3_lllS6_lllT4_llli
; %bb.0:
	s_load_dwordx4 s[28:31], s[4:5], 0x0
	s_load_dword s11, s[4:5], 0x10
	s_waitcnt lgkmcnt(0)
	v_cmp_eq_f32_e64 s[0:1], s31, 0
	v_cmp_eq_f32_e64 s[2:3], s11, 0
	s_and_b64 s[0:1], s[0:1], s[2:3]
	s_and_b64 vcc, exec, s[0:1]
	s_cbranch_vccnz .LBB27_21
; %bb.1:
	s_add_i32 s0, s30, -1
	s_ashr_i32 s1, s0, 31
	s_lshr_b32 s1, s1, 27
	s_add_i32 s0, s0, s1
	s_ashr_i32 s33, s0, 5
	s_cmp_gt_i32 s7, s33
	s_cbranch_scc1 .LBB27_21
; %bb.2:
	s_load_dwordx16 s[12:27], s[4:5], 0x18
	s_load_dwordx8 s[36:43], s[4:5], 0x58
	s_mov_b32 s10, s31
	v_and_b32_e32 v14, 0x3ff, v0
	v_lshl_add_u32 v2, s6, 5, v14
	s_waitcnt lgkmcnt(0)
	s_mul_i32 s1, s8, s19
	s_mul_hi_u32 s2, s8, s18
	s_mul_i32 s0, s8, s18
	s_add_i32 s1, s2, s1
	s_lshl_b64 s[0:1], s[0:1], 3
	s_add_u32 s2, s12, s0
	s_addc_u32 s3, s13, s1
	s_lshl_b64 s[0:1], s[14:15], 3
	s_add_u32 s31, s2, s0
	s_addc_u32 s34, s3, s1
	s_bitcmp1_b32 s28, 0
	s_mul_i32 s2, s8, s43
	s_mul_hi_u32 s3, s8, s42
	s_cselect_b64 s[0:1], -1, 0
	s_add_i32 s3, s3, s2
	s_mul_i32 s2, s8, s42
	s_lshl_b64 s[2:3], s[2:3], 3
	s_add_u32 s9, s36, s2
	s_addc_u32 s12, s37, s3
	s_lshl_b64 s[2:3], s[38:39], 3
	s_add_u32 s9, s9, s2
	s_addc_u32 s12, s12, s3
	s_mul_i32 s2, s8, s27
	s_mul_hi_u32 s3, s8, s26
	s_add_i32 s3, s3, s2
	s_mul_i32 s2, s8, s26
	s_lshl_b64 s[2:3], s[2:3], 3
	s_add_u32 s8, s20, s2
	s_addc_u32 s13, s21, s3
	s_lshl_b64 s[2:3], s[22:23], 3
	s_add_u32 s8, s8, s2
	v_ashrrev_i32_e32 v3, 31, v2
	s_addc_u32 s13, s13, s3
	v_bfe_u32 v15, v0, 10, 10
	v_lshlrev_b64 v[0:1], 3, v[2:3]
	s_load_dword s6, s[4:5], 0x84
	v_cmp_gt_i32_e64 s[2:3], s29, v2
	v_mov_b32_e32 v2, s13
	v_add_co_u32_e32 v16, vcc, s8, v0
	s_cmp_gt_i32 s30, 0
	v_addc_co_u32_e32 v17, vcc, v2, v1, vcc
	v_lshlrev_b32_e32 v2, 3, v15
	v_lshlrev_b32_e32 v18, 8, v14
	v_add_co_u32_e32 v22, vcc, s9, v0
	v_lshl_add_u32 v0, s7, 5, v15
	s_cselect_b64 s[4:5], -1, 0
	v_add_u32_e32 v19, v18, v2
	v_or_b32_e32 v20, 0x2000, v2
	v_mov_b32_e32 v2, s12
	v_sub_u32_e32 v24, 0, v0
	v_cndmask_b32_e64 v0, 0, 1, s[4:5]
	v_add_u32_e32 v21, v20, v18
	v_addc_co_u32_e32 v23, vcc, v2, v1, vcc
	s_waitcnt lgkmcnt(0)
	s_lshl_b32 s20, s6, 5
	v_cmp_ne_u32_e64 s[4:5], 1, v0
	s_branch .LBB27_4
.LBB27_3:                               ;   in Loop: Header=BB27_4 Depth=1
	s_add_i32 s7, s7, s6
	s_cmp_gt_i32 s7, s33
	v_subrev_u32_e32 v24, s20, v24
	s_cbranch_scc1 .LBB27_21
.LBB27_4:                               ; =>This Loop Header: Depth=1
                                        ;     Child Loop BB27_7 Depth 2
	s_and_b64 vcc, exec, s[4:5]
	s_cbranch_vccnz .LBB27_3
; %bb.5:                                ;   in Loop: Header=BB27_4 Depth=1
	v_lshl_add_u32 v8, s7, 5, v15
	v_ashrrev_i32_e32 v9, 31, v8
	v_mul_lo_u32 v2, v9, s16
	v_mul_lo_u32 v3, v8, s17
	v_mad_u64_u32 v[0:1], s[8:9], v8, s16, 0
	v_add3_u32 v1, v1, v3, v2
	v_lshlrev_b64 v[0:1], 3, v[0:1]
	v_mov_b32_e32 v2, s34
	v_add_co_u32_e32 v25, vcc, s31, v0
	v_addc_co_u32_e32 v26, vcc, v2, v1, vcc
	v_lshlrev_b64 v[0:1], 3, v[8:9]
	v_add_co_u32_e32 v27, vcc, s31, v0
	v_addc_co_u32_e32 v28, vcc, v2, v1, vcc
	v_mul_lo_u32 v4, v9, s40
	v_mul_lo_u32 v5, v8, s41
	v_mad_u64_u32 v[2:3], s[8:9], v8, s40, 0
	v_add3_u32 v3, v3, v5, v4
	v_cmp_gt_i32_e32 vcc, s30, v8
	v_lshlrev_b64 v[2:3], 3, v[2:3]
	s_and_b64 s[12:13], s[2:3], vcc
	v_add_co_u32_e32 v10, vcc, v22, v2
	v_addc_co_u32_e32 v11, vcc, v23, v3, vcc
	v_add_co_u32_e32 v12, vcc, v25, v0
	v_addc_co_u32_e32 v13, vcc, v26, v1, vcc
	v_add_u32_e32 v9, v14, v24
	s_mov_b32 s21, 0
	s_branch .LBB27_7
.LBB27_6:                               ;   in Loop: Header=BB27_7 Depth=2
	s_or_b64 exec, exec, s[8:9]
	s_add_i32 s21, s21, 32
	s_cmp_ge_i32 s21, s30
	s_barrier
	s_cbranch_scc1 .LBB27_3
.LBB27_7:                               ;   Parent Loop BB27_4 Depth=1
                                        ; =>  This Inner Loop Header: Depth=2
	v_add_u32_e32 v1, s21, v15
	v_cmp_gt_i32_e32 vcc, s30, v1
	s_and_b64 s[14:15], s[2:3], vcc
	v_mov_b32_e32 v0, 0
	v_mov_b32_e32 v2, 0
	;; [unrolled: 1-line block ×3, first 2 shown]
	s_and_saveexec_b64 s[8:9], s[14:15]
	s_cbranch_execz .LBB27_9
; %bb.8:                                ;   in Loop: Header=BB27_7 Depth=2
	v_ashrrev_i32_e32 v2, 31, v1
	v_mul_lo_u32 v4, v1, s25
	v_mul_lo_u32 v5, v2, s24
	v_mad_u64_u32 v[2:3], s[14:15], v1, s24, 0
	v_add3_u32 v3, v3, v4, v5
	v_lshlrev_b64 v[2:3], 3, v[2:3]
	v_add_co_u32_e32 v2, vcc, v16, v2
	v_addc_co_u32_e32 v3, vcc, v17, v3, vcc
	global_load_dwordx2 v[2:3], v[2:3], off
.LBB27_9:                               ;   in Loop: Header=BB27_7 Depth=2
	s_or_b64 exec, exec, s[8:9]
	s_waitcnt vmcnt(0)
	ds_write_b64 v19, v[2:3]
	v_add_u32_e32 v2, s21, v14
	v_cndmask_b32_e64 v1, v8, v2, s[0:1]
	v_cndmask_b32_e64 v3, v2, v8, s[0:1]
	v_cmp_gt_i32_e64 s[8:9], v1, v3
	v_cmp_le_i32_e32 vcc, v1, v3
	v_cndmask_b32_e64 v1, v2, v8, s[8:9]
	v_cndmask_b32_e64 v3, v8, v2, s[8:9]
	v_max_i32_e32 v1, v1, v3
	v_cmp_gt_i32_e64 s[8:9], s30, v1
	v_mov_b32_e32 v1, 0
	s_and_saveexec_b64 s[14:15], s[8:9]
	s_cbranch_execz .LBB27_19
; %bb.10:                               ;   in Loop: Header=BB27_7 Depth=2
                                        ; implicit-def: $vgpr1
	s_and_saveexec_b64 s[8:9], vcc
	s_xor_b64 s[8:9], exec, s[8:9]
	s_cbranch_execz .LBB27_16
; %bb.11:                               ;   in Loop: Header=BB27_7 Depth=2
	v_add_u32_e32 v0, s21, v9
	v_cmp_ne_u32_e32 vcc, 0, v0
                                        ; implicit-def: $vgpr1
	s_and_saveexec_b64 s[18:19], vcc
	s_xor_b64 s[18:19], exec, s[18:19]
	s_cbranch_execz .LBB27_13
; %bb.12:                               ;   in Loop: Header=BB27_7 Depth=2
	v_ashrrev_i32_e32 v3, 31, v2
	v_lshlrev_b64 v[0:1], 3, v[2:3]
	v_add_co_u32_e32 v0, vcc, v25, v0
	v_addc_co_u32_e32 v1, vcc, v26, v1, vcc
	global_load_dwordx2 v[0:1], v[0:1], off
.LBB27_13:                              ;   in Loop: Header=BB27_7 Depth=2
	s_andn2_saveexec_b64 s[18:19], s[18:19]
	s_cbranch_execz .LBB27_15
; %bb.14:                               ;   in Loop: Header=BB27_7 Depth=2
	global_load_dword v0, v[12:13], off
	s_waitcnt vmcnt(1)
	v_mov_b32_e32 v1, 0
.LBB27_15:                              ;   in Loop: Header=BB27_7 Depth=2
	s_or_b64 exec, exec, s[18:19]
                                        ; implicit-def: $vgpr2
.LBB27_16:                              ;   in Loop: Header=BB27_7 Depth=2
	s_andn2_saveexec_b64 s[8:9], s[8:9]
	s_cbranch_execz .LBB27_18
; %bb.17:                               ;   in Loop: Header=BB27_7 Depth=2
	s_waitcnt vmcnt(0)
	v_ashrrev_i32_e32 v0, 31, v2
	v_mul_lo_u32 v3, v2, s17
	v_mul_lo_u32 v4, v0, s16
	v_mad_u64_u32 v[0:1], s[18:19], v2, s16, 0
	v_add3_u32 v1, v1, v3, v4
	v_lshlrev_b64 v[0:1], 3, v[0:1]
	v_add_co_u32_e32 v0, vcc, v27, v0
	v_addc_co_u32_e32 v1, vcc, v28, v1, vcc
	global_load_dwordx2 v[0:1], v[0:1], off
	s_waitcnt vmcnt(0)
	v_xor_b32_e32 v1, 0x80000000, v1
.LBB27_18:                              ;   in Loop: Header=BB27_7 Depth=2
	s_or_b64 exec, exec, s[8:9]
.LBB27_19:                              ;   in Loop: Header=BB27_7 Depth=2
	s_or_b64 exec, exec, s[14:15]
	s_waitcnt vmcnt(0)
	ds_write_b64 v21, v[0:1]
	s_waitcnt lgkmcnt(0)
	s_barrier
	s_and_saveexec_b64 s[8:9], s[12:13]
	s_cbranch_execz .LBB27_6
; %bb.20:                               ;   in Loop: Header=BB27_7 Depth=2
	ds_read2_b64 v[0:3], v20 offset1:32
	ds_read_b128 v[4:7], v18
	ds_read_b128 v[30:33], v18 offset:16
	ds_read_b128 v[34:37], v18 offset:32
	;; [unrolled: 1-line block ×3, first 2 shown]
	ds_read2_b64 v[42:45], v20 offset0:64 offset1:96
	s_waitcnt lgkmcnt(4)
	v_mul_f32_e32 v29, v1, v5
	v_fma_f32 v29, v0, v4, -v29
	v_mul_f32_e32 v0, v0, v5
	v_fmac_f32_e32 v0, v1, v4
	v_mul_f32_e32 v4, v3, v7
	v_fma_f32 v4, v2, v6, -v4
	v_mul_f32_e32 v2, v2, v7
	v_add_f32_e32 v0, 0, v0
	v_fmac_f32_e32 v2, v3, v6
	s_waitcnt lgkmcnt(0)
	v_mul_f32_e32 v3, v42, v31
	v_add_f32_e32 v1, 0, v29
	v_add_f32_e32 v0, v0, v2
	v_mul_f32_e32 v2, v43, v31
	v_fmac_f32_e32 v3, v43, v30
	v_add_f32_e32 v1, v1, v4
	v_fma_f32 v2, v42, v30, -v2
	v_add_f32_e32 v5, v0, v3
	v_mul_f32_e32 v0, v45, v33
	v_add_f32_e32 v4, v1, v2
	v_fma_f32 v6, v44, v32, -v0
	ds_read2_b64 v[0:3], v20 offset0:128 offset1:160
	v_mul_f32_e32 v7, v44, v33
	v_add_f32_e32 v4, v4, v6
	v_fmac_f32_e32 v7, v45, v32
	v_add_f32_e32 v5, v5, v7
	s_waitcnt lgkmcnt(0)
	v_mul_f32_e32 v6, v1, v35
	v_fma_f32 v6, v0, v34, -v6
	v_mul_f32_e32 v0, v0, v35
	v_fmac_f32_e32 v0, v1, v34
	v_add_f32_e32 v1, v4, v6
	v_mul_f32_e32 v4, v3, v37
	v_add_f32_e32 v0, v5, v0
	v_fma_f32 v29, v2, v36, -v4
	ds_read2_b64 v[4:7], v20 offset0:192 offset1:224
	v_mul_f32_e32 v2, v2, v37
	v_fmac_f32_e32 v2, v3, v36
	v_add_f32_e32 v0, v0, v2
	v_add_f32_e32 v1, v1, v29
	s_waitcnt lgkmcnt(0)
	v_mul_f32_e32 v3, v4, v39
	v_mul_f32_e32 v2, v5, v39
	v_fmac_f32_e32 v3, v5, v38
	v_fma_f32 v2, v4, v38, -v2
	v_add_f32_e32 v5, v0, v3
	v_mul_f32_e32 v0, v7, v41
	v_add_u32_e32 v38, 0x800, v20
	v_add_f32_e32 v4, v1, v2
	v_fma_f32 v29, v6, v40, -v0
	ds_read2_b64 v[0:3], v38 offset1:32
	ds_read_b128 v[30:33], v18 offset:64
	v_mul_f32_e32 v6, v6, v41
	v_fmac_f32_e32 v6, v7, v40
	v_add_f32_e32 v29, v4, v29
	v_add_f32_e32 v34, v5, v6
	s_waitcnt lgkmcnt(0)
	v_mul_f32_e32 v35, v1, v31
	v_fma_f32 v35, v0, v30, -v35
	v_mul_f32_e32 v0, v0, v31
	v_fmac_f32_e32 v0, v1, v30
	ds_read_b128 v[4:7], v18 offset:80
	v_add_f32_e32 v1, v29, v35
	v_add_f32_e32 v0, v34, v0
	ds_read2_b64 v[34:37], v38 offset0:64 offset1:96
	v_mul_f32_e32 v29, v3, v33
	v_fma_f32 v29, v2, v32, -v29
	v_mul_f32_e32 v2, v2, v33
	v_fmac_f32_e32 v2, v3, v32
	s_waitcnt lgkmcnt(0)
	v_mul_f32_e32 v3, v34, v5
	v_add_f32_e32 v0, v0, v2
	v_mul_f32_e32 v2, v35, v5
	v_fmac_f32_e32 v3, v35, v4
	v_add_f32_e32 v1, v1, v29
	v_fma_f32 v2, v34, v4, -v2
	v_add_f32_e32 v5, v0, v3
	v_mul_f32_e32 v0, v37, v7
	v_add_f32_e32 v4, v1, v2
	v_fma_f32 v29, v36, v6, -v0
	ds_read2_b64 v[0:3], v38 offset0:128 offset1:160
	ds_read_b128 v[30:33], v18 offset:96
	v_mul_f32_e32 v7, v36, v7
	v_fmac_f32_e32 v7, v37, v6
	v_add_f32_e32 v29, v4, v29
	v_add_f32_e32 v34, v5, v7
	s_waitcnt lgkmcnt(0)
	v_mul_f32_e32 v35, v1, v31
	v_fma_f32 v35, v0, v30, -v35
	v_mul_f32_e32 v0, v0, v31
	v_fmac_f32_e32 v0, v1, v30
	ds_read_b128 v[4:7], v18 offset:112
	v_add_f32_e32 v1, v29, v35
	v_add_f32_e32 v0, v34, v0
	ds_read2_b64 v[34:37], v38 offset0:192 offset1:224
	v_mul_f32_e32 v29, v3, v33
	v_fma_f32 v29, v2, v32, -v29
	v_mul_f32_e32 v2, v2, v33
	v_fmac_f32_e32 v2, v3, v32
	s_waitcnt lgkmcnt(0)
	v_mul_f32_e32 v3, v34, v5
	v_add_f32_e32 v0, v0, v2
	v_mul_f32_e32 v2, v35, v5
	v_fmac_f32_e32 v3, v35, v4
	v_add_f32_e32 v1, v1, v29
	v_fma_f32 v2, v34, v4, -v2
	v_add_f32_e32 v5, v0, v3
	v_mul_f32_e32 v0, v37, v7
	v_add_u32_e32 v42, 0x1000, v20
	v_add_f32_e32 v4, v1, v2
	v_fma_f32 v29, v36, v6, -v0
	ds_read2_b64 v[0:3], v42 offset1:32
	ds_read_b128 v[30:33], v18 offset:128
	v_mul_f32_e32 v7, v36, v7
	v_fmac_f32_e32 v7, v37, v6
	ds_read_b128 v[34:37], v18 offset:144
	ds_read2_b64 v[38:41], v42 offset0:64 offset1:96
	s_waitcnt lgkmcnt(2)
	v_mul_f32_e32 v6, v1, v31
	v_add_f32_e32 v4, v4, v29
	v_fma_f32 v6, v0, v30, -v6
	v_mul_f32_e32 v0, v0, v31
	v_fmac_f32_e32 v0, v1, v30
	v_add_f32_e32 v1, v4, v6
	v_mul_f32_e32 v4, v3, v33
	v_add_f32_e32 v5, v5, v7
	v_fma_f32 v4, v2, v32, -v4
	v_mul_f32_e32 v2, v2, v33
	v_add_f32_e32 v0, v5, v0
	v_fmac_f32_e32 v2, v3, v32
	s_waitcnt lgkmcnt(0)
	v_mul_f32_e32 v3, v38, v35
	v_add_f32_e32 v0, v0, v2
	v_mul_f32_e32 v2, v39, v35
	v_fmac_f32_e32 v3, v39, v34
	v_add_f32_e32 v1, v1, v4
	v_fma_f32 v2, v38, v34, -v2
	v_add_f32_e32 v30, v0, v3
	v_mul_f32_e32 v0, v41, v37
	v_add_f32_e32 v29, v1, v2
	v_fma_f32 v31, v40, v36, -v0
	ds_read2_b64 v[0:3], v42 offset0:128 offset1:160
	ds_read_b128 v[4:7], v18 offset:160
	global_load_dwordx2 v[38:39], v[10:11], off
	v_mul_f32_e32 v32, v40, v37
	v_fmac_f32_e32 v32, v41, v36
	v_add_f32_e32 v29, v29, v31
	s_waitcnt lgkmcnt(0)
	v_mul_f32_e32 v35, v1, v5
	v_fma_f32 v35, v0, v4, -v35
	v_mul_f32_e32 v0, v0, v5
	v_add_f32_e32 v34, v30, v32
	v_fmac_f32_e32 v0, v1, v4
	ds_read_b128 v[30:33], v18 offset:176
	v_add_f32_e32 v1, v29, v35
	v_add_f32_e32 v0, v34, v0
	ds_read2_b64 v[34:37], v42 offset0:192 offset1:224
	v_mul_f32_e32 v4, v3, v7
	v_fma_f32 v4, v2, v6, -v4
	v_mul_f32_e32 v2, v2, v7
	v_fmac_f32_e32 v2, v3, v6
	s_waitcnt lgkmcnt(0)
	v_mul_f32_e32 v3, v34, v31
	v_add_f32_e32 v0, v0, v2
	v_mul_f32_e32 v2, v35, v31
	v_fmac_f32_e32 v3, v35, v30
	v_add_f32_e32 v1, v1, v4
	v_fma_f32 v2, v34, v30, -v2
	v_add_f32_e32 v30, v0, v3
	v_mul_f32_e32 v0, v37, v33
	v_add_u32_e32 v40, 0x1800, v20
	v_add_f32_e32 v29, v1, v2
	v_fma_f32 v31, v36, v32, -v0
	ds_read2_b64 v[0:3], v40 offset1:32
	ds_read_b128 v[4:7], v18 offset:192
	v_mul_f32_e32 v33, v36, v33
	v_fmac_f32_e32 v33, v37, v32
	v_add_f32_e32 v29, v29, v31
	v_add_f32_e32 v34, v30, v33
	s_waitcnt lgkmcnt(0)
	v_mul_f32_e32 v35, v1, v5
	v_fma_f32 v35, v0, v4, -v35
	v_mul_f32_e32 v0, v0, v5
	v_fmac_f32_e32 v0, v1, v4
	ds_read_b128 v[30:33], v18 offset:208
	v_add_f32_e32 v1, v29, v35
	v_add_f32_e32 v0, v34, v0
	ds_read2_b64 v[34:37], v40 offset0:64 offset1:96
	v_mul_f32_e32 v4, v3, v7
	v_fma_f32 v4, v2, v6, -v4
	v_mul_f32_e32 v2, v2, v7
	v_fmac_f32_e32 v2, v3, v6
	s_waitcnt lgkmcnt(0)
	v_mul_f32_e32 v3, v34, v31
	v_add_f32_e32 v0, v0, v2
	v_mul_f32_e32 v2, v35, v31
	v_fmac_f32_e32 v3, v35, v30
	v_add_f32_e32 v1, v1, v4
	v_fma_f32 v2, v34, v30, -v2
	v_add_f32_e32 v30, v0, v3
	v_mul_f32_e32 v0, v37, v33
	v_add_f32_e32 v29, v1, v2
	v_fma_f32 v31, v36, v32, -v0
	ds_read2_b64 v[0:3], v40 offset0:128 offset1:160
	ds_read_b128 v[4:7], v18 offset:224
	v_mul_f32_e32 v33, v36, v33
	v_fmac_f32_e32 v33, v37, v32
	v_add_f32_e32 v29, v29, v31
	v_add_f32_e32 v34, v30, v33
	s_waitcnt lgkmcnt(0)
	v_mul_f32_e32 v35, v1, v5
	v_fma_f32 v35, v0, v4, -v35
	v_mul_f32_e32 v0, v0, v5
	v_fmac_f32_e32 v0, v1, v4
	ds_read_b128 v[30:33], v18 offset:240
	v_add_f32_e32 v1, v29, v35
	v_add_f32_e32 v0, v34, v0
	ds_read2_b64 v[34:37], v40 offset0:192 offset1:224
	v_mul_f32_e32 v4, v3, v7
	v_fma_f32 v4, v2, v6, -v4
	v_mul_f32_e32 v2, v2, v7
	v_fmac_f32_e32 v2, v3, v6
	v_add_f32_e32 v0, v0, v2
	s_waitcnt lgkmcnt(0)
	v_mul_f32_e32 v2, v35, v31
	v_mul_f32_e32 v3, v34, v31
	v_add_f32_e32 v1, v1, v4
	v_fma_f32 v2, v34, v30, -v2
	v_fmac_f32_e32 v3, v35, v30
	v_add_f32_e32 v1, v1, v2
	v_add_f32_e32 v2, v0, v3
	v_mul_f32_e32 v3, v36, v33
	v_mul_f32_e32 v0, v37, v33
	v_fmac_f32_e32 v3, v37, v32
	v_fma_f32 v0, v36, v32, -v0
	v_add_f32_e32 v2, v2, v3
	v_add_f32_e32 v0, v1, v0
	v_pk_mul_f32 v[2:3], s[10:11], v[2:3] op_sel_hi:[1,0]
	v_pk_fma_f32 v[4:5], s[10:11], v[0:1], v[2:3] op_sel:[0,0,1] op_sel_hi:[1,1,0] neg_lo:[0,0,1] neg_hi:[0,0,1]
	v_pk_fma_f32 v[0:1], s[10:11], v[0:1], v[2:3] op_sel:[0,0,1] op_sel_hi:[1,0,0]
	v_mov_b32_e32 v5, v1
	s_waitcnt vmcnt(0)
	v_pk_add_f32 v[0:1], v[38:39], v[4:5]
	global_store_dwordx2 v[10:11], v[0:1], off
	s_branch .LBB27_6
.LBB27_21:
	s_endpgm
	.section	.rodata,"a",@progbits
	.p2align	6, 0x0
	.amdhsa_kernel _ZL24rocblas_symm_hemm_kernelILb1ELb1ELi32E19rocblas_complex_numIfEPKS1_PS1_EvbiiT2_T3_lllS6_lllT4_llli
		.amdhsa_group_segment_fixed_size 16384
		.amdhsa_private_segment_fixed_size 0
		.amdhsa_kernarg_size 384
		.amdhsa_user_sgpr_count 6
		.amdhsa_user_sgpr_private_segment_buffer 1
		.amdhsa_user_sgpr_dispatch_ptr 0
		.amdhsa_user_sgpr_queue_ptr 0
		.amdhsa_user_sgpr_kernarg_segment_ptr 1
		.amdhsa_user_sgpr_dispatch_id 0
		.amdhsa_user_sgpr_flat_scratch_init 0
		.amdhsa_user_sgpr_kernarg_preload_length 0
		.amdhsa_user_sgpr_kernarg_preload_offset 0
		.amdhsa_user_sgpr_private_segment_size 0
		.amdhsa_uses_dynamic_stack 0
		.amdhsa_system_sgpr_private_segment_wavefront_offset 0
		.amdhsa_system_sgpr_workgroup_id_x 1
		.amdhsa_system_sgpr_workgroup_id_y 1
		.amdhsa_system_sgpr_workgroup_id_z 1
		.amdhsa_system_sgpr_workgroup_info 0
		.amdhsa_system_vgpr_workitem_id 1
		.amdhsa_next_free_vgpr 46
		.amdhsa_next_free_sgpr 44
		.amdhsa_accum_offset 48
		.amdhsa_reserve_vcc 1
		.amdhsa_reserve_flat_scratch 0
		.amdhsa_float_round_mode_32 0
		.amdhsa_float_round_mode_16_64 0
		.amdhsa_float_denorm_mode_32 3
		.amdhsa_float_denorm_mode_16_64 3
		.amdhsa_dx10_clamp 1
		.amdhsa_ieee_mode 1
		.amdhsa_fp16_overflow 0
		.amdhsa_tg_split 0
		.amdhsa_exception_fp_ieee_invalid_op 0
		.amdhsa_exception_fp_denorm_src 0
		.amdhsa_exception_fp_ieee_div_zero 0
		.amdhsa_exception_fp_ieee_overflow 0
		.amdhsa_exception_fp_ieee_underflow 0
		.amdhsa_exception_fp_ieee_inexact 0
		.amdhsa_exception_int_div_zero 0
	.end_amdhsa_kernel
	.section	.text._ZL24rocblas_symm_hemm_kernelILb1ELb1ELi32E19rocblas_complex_numIfEPKS1_PS1_EvbiiT2_T3_lllS6_lllT4_llli,"axG",@progbits,_ZL24rocblas_symm_hemm_kernelILb1ELb1ELi32E19rocblas_complex_numIfEPKS1_PS1_EvbiiT2_T3_lllS6_lllT4_llli,comdat
.Lfunc_end27:
	.size	_ZL24rocblas_symm_hemm_kernelILb1ELb1ELi32E19rocblas_complex_numIfEPKS1_PS1_EvbiiT2_T3_lllS6_lllT4_llli, .Lfunc_end27-_ZL24rocblas_symm_hemm_kernelILb1ELb1ELi32E19rocblas_complex_numIfEPKS1_PS1_EvbiiT2_T3_lllS6_lllT4_llli
                                        ; -- End function
	.section	.AMDGPU.csdata,"",@progbits
; Kernel info:
; codeLenInByte = 2268
; NumSgprs: 48
; NumVgprs: 46
; NumAgprs: 0
; TotalNumVgprs: 46
; ScratchSize: 0
; MemoryBound: 0
; FloatMode: 240
; IeeeMode: 1
; LDSByteSize: 16384 bytes/workgroup (compile time only)
; SGPRBlocks: 5
; VGPRBlocks: 5
; NumSGPRsForWavesPerEU: 48
; NumVGPRsForWavesPerEU: 46
; AccumOffset: 48
; Occupancy: 8
; WaveLimiterHint : 0
; COMPUTE_PGM_RSRC2:SCRATCH_EN: 0
; COMPUTE_PGM_RSRC2:USER_SGPR: 6
; COMPUTE_PGM_RSRC2:TRAP_HANDLER: 0
; COMPUTE_PGM_RSRC2:TGID_X_EN: 1
; COMPUTE_PGM_RSRC2:TGID_Y_EN: 1
; COMPUTE_PGM_RSRC2:TGID_Z_EN: 1
; COMPUTE_PGM_RSRC2:TIDIG_COMP_CNT: 1
; COMPUTE_PGM_RSRC3_GFX90A:ACCUM_OFFSET: 11
; COMPUTE_PGM_RSRC3_GFX90A:TG_SPLIT: 0
	.section	.text._ZL24rocblas_symm_hemm_kernelILb1ELb0ELi32EPK19rocblas_complex_numIdES3_PS1_EvbiiT2_T3_lllS6_lllT4_llli,"axG",@progbits,_ZL24rocblas_symm_hemm_kernelILb1ELb0ELi32EPK19rocblas_complex_numIdES3_PS1_EvbiiT2_T3_lllS6_lllT4_llli,comdat
	.globl	_ZL24rocblas_symm_hemm_kernelILb1ELb0ELi32EPK19rocblas_complex_numIdES3_PS1_EvbiiT2_T3_lllS6_lllT4_llli ; -- Begin function _ZL24rocblas_symm_hemm_kernelILb1ELb0ELi32EPK19rocblas_complex_numIdES3_PS1_EvbiiT2_T3_lllS6_lllT4_llli
	.p2align	8
	.type	_ZL24rocblas_symm_hemm_kernelILb1ELb0ELi32EPK19rocblas_complex_numIdES3_PS1_EvbiiT2_T3_lllS6_lllT4_llli,@function
_ZL24rocblas_symm_hemm_kernelILb1ELb0ELi32EPK19rocblas_complex_numIdES3_PS1_EvbiiT2_T3_lllS6_lllT4_llli: ; @_ZL24rocblas_symm_hemm_kernelILb1ELb0ELi32EPK19rocblas_complex_numIdES3_PS1_EvbiiT2_T3_lllS6_lllT4_llli
; %bb.0:
	s_load_dwordx16 s[12:27], s[4:5], 0x10
	s_waitcnt lgkmcnt(0)
	s_load_dwordx4 s[28:31], s[12:13], 0x0
	s_waitcnt lgkmcnt(0)
	v_cmp_eq_f64_e64 s[0:1], s[28:29], 0
	v_cmp_eq_f64_e64 s[2:3], s[30:31], 0
	s_and_b64 s[0:1], s[0:1], s[2:3]
	s_and_b64 vcc, exec, s[0:1]
	s_cbranch_vccnz .LBB28_21
; %bb.1:
	s_load_dwordx4 s[44:47], s[4:5], 0x0
	s_waitcnt lgkmcnt(0)
	s_add_i32 s0, s46, -1
	s_ashr_i32 s1, s0, 31
	s_lshr_b32 s1, s1, 27
	s_add_i32 s0, s0, s1
	s_ashr_i32 s33, s0, 5
	s_cmp_gt_i32 s7, s33
	s_cbranch_scc1 .LBB28_21
; %bb.2:
	s_load_dwordx8 s[36:43], s[4:5], 0x50
	v_and_b32_e32 v28, 0x3ff, v0
	v_lshl_add_u32 v16, s6, 5, v28
	v_ashrrev_i32_e32 v17, 31, v16
	v_bfe_u32 v29, v0, 10, 10
	s_waitcnt lgkmcnt(0)
	s_mul_i32 s1, s8, s37
	s_mul_hi_u32 s2, s8, s36
	s_mul_i32 s0, s8, s36
	s_add_i32 s1, s2, s1
	s_lshl_b64 s[0:1], s[0:1], 4
	s_add_u32 s2, s22, s0
	s_addc_u32 s9, s23, s1
	s_lshl_b64 s[0:1], s[24:25], 4
	s_add_u32 s22, s2, s0
	s_load_dwordx2 s[2:3], s[4:5], 0x70
	s_load_dword s24, s[4:5], 0x84
	s_addc_u32 s23, s9, s1
	s_bitcmp1_b32 s44, 0
	s_cselect_b64 s[0:1], -1, 0
	s_waitcnt lgkmcnt(0)
	s_mul_i32 s3, s8, s3
	s_mul_hi_u32 s4, s8, s2
	s_add_i32 s3, s4, s3
	s_mul_i32 s2, s8, s2
	s_lshl_b64 s[2:3], s[2:3], 4
	s_add_u32 s4, s38, s2
	s_addc_u32 s5, s39, s3
	s_lshl_b64 s[2:3], s[40:41], 4
	s_add_u32 s4, s4, s2
	s_addc_u32 s5, s5, s3
	s_mul_i32 s2, s8, s21
	s_mul_hi_u32 s3, s8, s20
	s_add_i32 s3, s3, s2
	s_mul_i32 s2, s8, s20
	s_lshl_b64 s[2:3], s[2:3], 4
	s_add_u32 s8, s14, s2
	s_addc_u32 s9, s15, s3
	s_lshl_b64 s[2:3], s[16:17], 4
	s_add_u32 s8, s8, s2
	s_addc_u32 s9, s9, s3
	v_lshlrev_b64 v[0:1], 4, v[16:17]
	v_mov_b32_e32 v2, s9
	v_add_co_u32_e32 v30, vcc, s8, v0
	v_addc_co_u32_e32 v31, vcc, v2, v1, vcc
	v_mul_lo_u32 v4, v17, s18
	v_mul_lo_u32 v5, v16, s19
	v_mad_u64_u32 v[2:3], s[2:3], v16, s18, 0
	v_add3_u32 v3, v3, v5, v4
	v_lshlrev_b64 v[2:3], 4, v[2:3]
	v_mov_b32_e32 v4, s9
	v_add_co_u32_e32 v17, vcc, s8, v2
	v_addc_co_u32_e32 v32, vcc, v4, v3, vcc
	v_lshlrev_b32_e32 v4, 4, v29
	v_lshlrev_b32_e32 v33, 9, v28
	v_add_u32_e32 v34, v33, v4
	v_or_b32_e32 v35, 0x4000, v4
	v_mov_b32_e32 v4, s5
	v_add_co_u32_e32 v37, vcc, s4, v0
	v_addc_co_u32_e32 v38, vcc, v4, v1, vcc
	s_cmp_gt_i32 s45, 0
	v_add_co_u32_e32 v18, vcc, v30, v2
	v_add_u32_e32 v36, v35, v33
	v_cmp_gt_i32_e64 s[2:3], s45, v16
	v_addc_co_u32_e32 v19, vcc, v31, v3, vcc
	s_cselect_b64 s[10:11], -1, 0
	s_branch .LBB28_4
.LBB28_3:                               ;   in Loop: Header=BB28_4 Depth=1
	s_add_i32 s7, s7, s24
	s_cmp_gt_i32 s7, s33
	s_cbranch_scc1 .LBB28_21
.LBB28_4:                               ; =>This Loop Header: Depth=1
                                        ;     Child Loop BB28_7 Depth 2
	s_andn2_b64 vcc, exec, s[10:11]
	s_cbranch_vccnz .LBB28_3
; %bb.5:                                ;   in Loop: Header=BB28_4 Depth=1
	v_lshl_add_u32 v2, s7, 5, v29
	v_ashrrev_i32_e32 v3, 31, v2
	v_mul_lo_u32 v4, v3, s26
	v_mul_lo_u32 v5, v2, s27
	v_mad_u64_u32 v[0:1], s[4:5], v2, s26, 0
	v_add3_u32 v1, v1, v5, v4
	v_lshlrev_b64 v[0:1], 4, v[0:1]
	v_mov_b32_e32 v4, s23
	v_add_co_u32_e64 v39, s[4:5], s22, v0
	v_addc_co_u32_e64 v40, s[4:5], v4, v1, s[4:5]
	v_mul_lo_u32 v3, v3, s42
	v_mul_lo_u32 v4, v2, s43
	v_mad_u64_u32 v[0:1], s[4:5], v2, s42, 0
	v_add3_u32 v1, v1, v4, v3
	v_lshlrev_b64 v[0:1], 4, v[0:1]
	v_cmp_gt_i32_e32 vcc, s46, v2
	v_add_co_u32_e64 v20, s[4:5], v37, v0
	s_and_b64 s[12:13], s[2:3], vcc
	v_addc_co_u32_e64 v21, s[4:5], v38, v1, s[4:5]
	s_mov_b32 s6, 0
	s_branch .LBB28_7
.LBB28_6:                               ;   in Loop: Header=BB28_7 Depth=2
	s_or_b64 exec, exec, s[4:5]
	s_add_i32 s6, s6, 32
	s_cmp_ge_i32 s6, s45
	s_barrier
	s_cbranch_scc1 .LBB28_3
.LBB28_7:                               ;   Parent Loop BB28_4 Depth=1
                                        ; =>  This Inner Loop Header: Depth=2
	v_add_u32_e32 v6, s6, v29
	v_cndmask_b32_e64 v0, v6, v16, s[0:1]
	v_cndmask_b32_e64 v1, v16, v6, s[0:1]
	v_cmp_gt_i32_e64 s[8:9], v0, v1
	v_cmp_le_i32_e64 s[4:5], v0, v1
	v_cndmask_b32_e64 v0, v16, v6, s[8:9]
	v_cndmask_b32_e64 v1, v6, v16, s[8:9]
	v_max_i32_e32 v0, v0, v1
	v_cmp_gt_i32_e64 s[8:9], s45, v0
	v_pk_mov_b32 v[0:1], 0, 0
	v_pk_mov_b32 v[2:3], v[0:1], v[0:1] op_sel:[0,1]
	v_pk_mov_b32 v[4:5], v[0:1], v[0:1] op_sel:[0,1]
	s_and_saveexec_b64 s[14:15], s[8:9]
	s_cbranch_execz .LBB28_17
; %bb.8:                                ;   in Loop: Header=BB28_7 Depth=2
                                        ; implicit-def: $vgpr4_vgpr5
	s_and_saveexec_b64 s[8:9], s[4:5]
	s_xor_b64 s[8:9], exec, s[8:9]
	s_cbranch_execz .LBB28_14
; %bb.9:                                ;   in Loop: Header=BB28_7 Depth=2
	v_cmp_ne_u32_e64 s[4:5], v6, v16
                                        ; implicit-def: $vgpr4_vgpr5
	s_and_saveexec_b64 s[16:17], s[4:5]
	s_xor_b64 s[16:17], exec, s[16:17]
	s_cbranch_execz .LBB28_11
; %bb.10:                               ;   in Loop: Header=BB28_7 Depth=2
	v_ashrrev_i32_e32 v2, 31, v6
	v_mul_lo_u32 v4, v6, s19
	v_mul_lo_u32 v5, v2, s18
	v_mad_u64_u32 v[2:3], s[4:5], v6, s18, 0
	v_add3_u32 v3, v3, v4, v5
	v_lshlrev_b64 v[2:3], 4, v[2:3]
	v_add_co_u32_e64 v2, s[4:5], v30, v2
	v_addc_co_u32_e64 v3, s[4:5], v31, v3, s[4:5]
	global_load_dwordx4 v[2:5], v[2:3], off
.LBB28_11:                              ;   in Loop: Header=BB28_7 Depth=2
	s_andn2_saveexec_b64 s[4:5], s[16:17]
	s_cbranch_execz .LBB28_13
; %bb.12:                               ;   in Loop: Header=BB28_7 Depth=2
	global_load_dwordx2 v[2:3], v[18:19], off
	s_waitcnt vmcnt(1)
	v_pk_mov_b32 v[4:5], 0, 0
.LBB28_13:                              ;   in Loop: Header=BB28_7 Depth=2
	s_or_b64 exec, exec, s[4:5]
                                        ; implicit-def: $vgpr6
.LBB28_14:                              ;   in Loop: Header=BB28_7 Depth=2
	s_andn2_saveexec_b64 s[8:9], s[8:9]
	s_cbranch_execz .LBB28_16
; %bb.15:                               ;   in Loop: Header=BB28_7 Depth=2
	v_ashrrev_i32_e32 v7, 31, v6
	s_waitcnt vmcnt(0)
	v_lshlrev_b64 v[2:3], 4, v[6:7]
	v_add_co_u32_e64 v2, s[4:5], v17, v2
	v_addc_co_u32_e64 v3, s[4:5], v32, v3, s[4:5]
	global_load_dwordx4 v[2:5], v[2:3], off
	s_waitcnt vmcnt(0)
	v_xor_b32_e32 v5, 0x80000000, v5
.LBB28_16:                              ;   in Loop: Header=BB28_7 Depth=2
	s_or_b64 exec, exec, s[8:9]
.LBB28_17:                              ;   in Loop: Header=BB28_7 Depth=2
	s_or_b64 exec, exec, s[14:15]
	s_waitcnt vmcnt(0)
	ds_write_b128 v34, v[2:5]
	v_add_u32_e32 v4, s6, v28
	v_cmp_gt_i32_e64 s[4:5], s45, v4
	s_and_b64 s[4:5], s[4:5], vcc
	v_pk_mov_b32 v[2:3], v[0:1], v[0:1] op_sel:[0,1]
	s_and_saveexec_b64 s[8:9], s[4:5]
	s_cbranch_execz .LBB28_19
; %bb.18:                               ;   in Loop: Header=BB28_7 Depth=2
	v_ashrrev_i32_e32 v5, 31, v4
	v_lshlrev_b64 v[0:1], 4, v[4:5]
	v_add_co_u32_e64 v0, s[4:5], v39, v0
	v_addc_co_u32_e64 v1, s[4:5], v40, v1, s[4:5]
	global_load_dwordx4 v[0:3], v[0:1], off
.LBB28_19:                              ;   in Loop: Header=BB28_7 Depth=2
	s_or_b64 exec, exec, s[8:9]
	s_waitcnt vmcnt(0)
	ds_write_b128 v36, v[0:3]
	s_waitcnt lgkmcnt(0)
	s_barrier
	s_and_saveexec_b64 s[4:5], s[12:13]
	s_cbranch_execz .LBB28_6
; %bb.20:                               ;   in Loop: Header=BB28_7 Depth=2
	ds_read_b128 v[0:3], v35
	ds_read_b128 v[4:7], v33
	ds_read_b128 v[8:11], v33 offset:16
	ds_read_b128 v[12:15], v33 offset:32
	;; [unrolled: 1-line block ×4, first 2 shown]
	s_waitcnt lgkmcnt(4)
	v_mul_f64 v[26:27], v[2:3], v[6:7]
	v_fma_f64 v[26:27], v[0:1], v[4:5], -v[26:27]
	v_mul_f64 v[0:1], v[0:1], v[6:7]
	v_fmac_f64_e32 v[0:1], v[2:3], v[4:5]
	v_add_f64 v[6:7], v[0:1], 0
	s_waitcnt lgkmcnt(0)
	v_mul_f64 v[0:1], v[44:45], v[10:11]
	v_add_f64 v[4:5], v[26:27], 0
	v_fma_f64 v[26:27], v[42:43], v[8:9], -v[0:1]
	ds_read_b128 v[0:3], v35 offset:1024
	v_mul_f64 v[10:11], v[42:43], v[10:11]
	v_fmac_f64_e32 v[10:11], v[44:45], v[8:9]
	v_add_f64 v[8:9], v[4:5], v[26:27]
	v_add_f64 v[10:11], v[6:7], v[10:11]
	ds_read_b128 v[4:7], v35 offset:1536
	s_waitcnt lgkmcnt(1)
	v_mul_f64 v[26:27], v[2:3], v[14:15]
	v_fma_f64 v[26:27], v[0:1], v[12:13], -v[26:27]
	v_mul_f64 v[0:1], v[0:1], v[14:15]
	v_fmac_f64_e32 v[0:1], v[2:3], v[12:13]
	v_add_f64 v[10:11], v[10:11], v[0:1]
	s_waitcnt lgkmcnt(0)
	v_mul_f64 v[0:1], v[6:7], v[24:25]
	v_mul_f64 v[14:15], v[4:5], v[24:25]
	v_add_f64 v[8:9], v[8:9], v[26:27]
	v_fma_f64 v[12:13], v[4:5], v[22:23], -v[0:1]
	v_fmac_f64_e32 v[14:15], v[6:7], v[22:23]
	ds_read_b128 v[0:3], v33 offset:64
	ds_read_b128 v[4:7], v35 offset:2048
	v_add_f64 v[22:23], v[8:9], v[12:13]
	v_add_f64 v[24:25], v[10:11], v[14:15]
	ds_read_b128 v[8:11], v35 offset:2560
	ds_read_b128 v[12:15], v33 offset:80
	s_waitcnt lgkmcnt(2)
	v_mul_f64 v[26:27], v[6:7], v[2:3]
	v_mul_f64 v[2:3], v[4:5], v[2:3]
	v_fma_f64 v[26:27], v[4:5], v[0:1], -v[26:27]
	v_fmac_f64_e32 v[2:3], v[6:7], v[0:1]
	s_waitcnt lgkmcnt(0)
	v_mul_f64 v[0:1], v[10:11], v[14:15]
	v_add_f64 v[22:23], v[22:23], v[26:27]
	v_fma_f64 v[26:27], v[8:9], v[12:13], -v[0:1]
	v_mul_f64 v[8:9], v[8:9], v[14:15]
	v_add_f64 v[24:25], v[24:25], v[2:3]
	v_fmac_f64_e32 v[8:9], v[10:11], v[12:13]
	ds_read_b128 v[0:3], v33 offset:96
	ds_read_b128 v[4:7], v35 offset:3072
	v_add_f64 v[24:25], v[24:25], v[8:9]
	ds_read_b128 v[8:11], v35 offset:3584
	ds_read_b128 v[12:15], v33 offset:112
	v_add_f64 v[22:23], v[22:23], v[26:27]
	s_waitcnt lgkmcnt(2)
	v_mul_f64 v[26:27], v[6:7], v[2:3]
	v_mul_f64 v[2:3], v[4:5], v[2:3]
	v_fma_f64 v[26:27], v[4:5], v[0:1], -v[26:27]
	v_fmac_f64_e32 v[2:3], v[6:7], v[0:1]
	s_waitcnt lgkmcnt(0)
	v_mul_f64 v[0:1], v[10:11], v[14:15]
	v_add_f64 v[22:23], v[22:23], v[26:27]
	v_fma_f64 v[26:27], v[8:9], v[12:13], -v[0:1]
	v_mul_f64 v[8:9], v[8:9], v[14:15]
	v_add_f64 v[24:25], v[24:25], v[2:3]
	v_fmac_f64_e32 v[8:9], v[10:11], v[12:13]
	ds_read_b128 v[0:3], v33 offset:128
	ds_read_b128 v[4:7], v35 offset:4096
	v_add_f64 v[24:25], v[24:25], v[8:9]
	ds_read_b128 v[8:11], v35 offset:4608
	ds_read_b128 v[12:15], v33 offset:144
	v_add_f64 v[22:23], v[22:23], v[26:27]
	;; [unrolled: 18-line block ×8, first 2 shown]
	s_waitcnt lgkmcnt(2)
	v_mul_f64 v[26:27], v[6:7], v[2:3]
	v_mul_f64 v[2:3], v[4:5], v[2:3]
	v_fma_f64 v[26:27], v[4:5], v[0:1], -v[26:27]
	v_fmac_f64_e32 v[2:3], v[6:7], v[0:1]
	s_waitcnt lgkmcnt(0)
	v_mul_f64 v[0:1], v[10:11], v[14:15]
	v_add_f64 v[22:23], v[22:23], v[26:27]
	v_fma_f64 v[26:27], v[8:9], v[12:13], -v[0:1]
	v_mul_f64 v[8:9], v[8:9], v[14:15]
	v_add_f64 v[24:25], v[24:25], v[2:3]
	v_fmac_f64_e32 v[8:9], v[10:11], v[12:13]
	ds_read_b128 v[0:3], v33 offset:352
	ds_read_b128 v[4:7], v35 offset:11264
	v_add_f64 v[24:25], v[24:25], v[8:9]
	ds_read_b128 v[8:11], v35 offset:11776
	ds_read_b128 v[12:15], v33 offset:368
	global_load_dwordx4 v[42:45], v[20:21], off
	v_add_f64 v[22:23], v[22:23], v[26:27]
	s_waitcnt lgkmcnt(2)
	v_mul_f64 v[26:27], v[6:7], v[2:3]
	v_mul_f64 v[2:3], v[4:5], v[2:3]
	v_fma_f64 v[26:27], v[4:5], v[0:1], -v[26:27]
	v_fmac_f64_e32 v[2:3], v[6:7], v[0:1]
	s_waitcnt lgkmcnt(0)
	v_mul_f64 v[0:1], v[10:11], v[14:15]
	v_add_f64 v[22:23], v[22:23], v[26:27]
	v_fma_f64 v[26:27], v[8:9], v[12:13], -v[0:1]
	v_mul_f64 v[8:9], v[8:9], v[14:15]
	v_add_f64 v[24:25], v[24:25], v[2:3]
	v_fmac_f64_e32 v[8:9], v[10:11], v[12:13]
	ds_read_b128 v[0:3], v33 offset:384
	ds_read_b128 v[4:7], v35 offset:12288
	v_add_f64 v[24:25], v[24:25], v[8:9]
	ds_read_b128 v[8:11], v35 offset:12800
	ds_read_b128 v[12:15], v33 offset:400
	v_add_f64 v[22:23], v[22:23], v[26:27]
	s_waitcnt lgkmcnt(2)
	v_mul_f64 v[26:27], v[6:7], v[2:3]
	v_mul_f64 v[2:3], v[4:5], v[2:3]
	v_fma_f64 v[26:27], v[4:5], v[0:1], -v[26:27]
	v_fmac_f64_e32 v[2:3], v[6:7], v[0:1]
	s_waitcnt lgkmcnt(0)
	v_mul_f64 v[0:1], v[10:11], v[14:15]
	v_add_f64 v[22:23], v[22:23], v[26:27]
	v_fma_f64 v[26:27], v[8:9], v[12:13], -v[0:1]
	v_mul_f64 v[8:9], v[8:9], v[14:15]
	v_add_f64 v[24:25], v[24:25], v[2:3]
	v_fmac_f64_e32 v[8:9], v[10:11], v[12:13]
	ds_read_b128 v[0:3], v33 offset:416
	ds_read_b128 v[4:7], v35 offset:13312
	v_add_f64 v[24:25], v[24:25], v[8:9]
	ds_read_b128 v[8:11], v35 offset:13824
	ds_read_b128 v[12:15], v33 offset:432
	;; [unrolled: 18-line block ×4, first 2 shown]
	v_add_f64 v[22:23], v[22:23], v[26:27]
	s_waitcnt lgkmcnt(2)
	v_mul_f64 v[26:27], v[6:7], v[2:3]
	v_mul_f64 v[2:3], v[4:5], v[2:3]
	v_fma_f64 v[26:27], v[4:5], v[0:1], -v[26:27]
	v_fmac_f64_e32 v[2:3], v[6:7], v[0:1]
	s_waitcnt lgkmcnt(0)
	v_mul_f64 v[4:5], v[10:11], v[14:15]
	v_mul_f64 v[6:7], v[8:9], v[14:15]
	v_add_f64 v[0:1], v[22:23], v[26:27]
	v_add_f64 v[2:3], v[24:25], v[2:3]
	v_fma_f64 v[4:5], v[8:9], v[12:13], -v[4:5]
	v_fmac_f64_e32 v[6:7], v[10:11], v[12:13]
	v_add_f64 v[0:1], v[0:1], v[4:5]
	v_add_f64 v[2:3], v[2:3], v[6:7]
	v_mul_f64 v[4:5], s[30:31], v[2:3]
	v_mul_f64 v[6:7], s[30:31], v[0:1]
	v_fma_f64 v[4:5], s[28:29], v[0:1], -v[4:5]
	v_fmac_f64_e32 v[6:7], s[28:29], v[2:3]
	s_waitcnt vmcnt(0)
	v_add_f64 v[0:1], v[42:43], v[4:5]
	v_add_f64 v[2:3], v[44:45], v[6:7]
	global_store_dwordx4 v[20:21], v[0:3], off
	s_branch .LBB28_6
.LBB28_21:
	s_endpgm
	.section	.rodata,"a",@progbits
	.p2align	6, 0x0
	.amdhsa_kernel _ZL24rocblas_symm_hemm_kernelILb1ELb0ELi32EPK19rocblas_complex_numIdES3_PS1_EvbiiT2_T3_lllS6_lllT4_llli
		.amdhsa_group_segment_fixed_size 32768
		.amdhsa_private_segment_fixed_size 0
		.amdhsa_kernarg_size 384
		.amdhsa_user_sgpr_count 6
		.amdhsa_user_sgpr_private_segment_buffer 1
		.amdhsa_user_sgpr_dispatch_ptr 0
		.amdhsa_user_sgpr_queue_ptr 0
		.amdhsa_user_sgpr_kernarg_segment_ptr 1
		.amdhsa_user_sgpr_dispatch_id 0
		.amdhsa_user_sgpr_flat_scratch_init 0
		.amdhsa_user_sgpr_kernarg_preload_length 0
		.amdhsa_user_sgpr_kernarg_preload_offset 0
		.amdhsa_user_sgpr_private_segment_size 0
		.amdhsa_uses_dynamic_stack 0
		.amdhsa_system_sgpr_private_segment_wavefront_offset 0
		.amdhsa_system_sgpr_workgroup_id_x 1
		.amdhsa_system_sgpr_workgroup_id_y 1
		.amdhsa_system_sgpr_workgroup_id_z 1
		.amdhsa_system_sgpr_workgroup_info 0
		.amdhsa_system_vgpr_workitem_id 1
		.amdhsa_next_free_vgpr 46
		.amdhsa_next_free_sgpr 48
		.amdhsa_accum_offset 48
		.amdhsa_reserve_vcc 1
		.amdhsa_reserve_flat_scratch 0
		.amdhsa_float_round_mode_32 0
		.amdhsa_float_round_mode_16_64 0
		.amdhsa_float_denorm_mode_32 3
		.amdhsa_float_denorm_mode_16_64 3
		.amdhsa_dx10_clamp 1
		.amdhsa_ieee_mode 1
		.amdhsa_fp16_overflow 0
		.amdhsa_tg_split 0
		.amdhsa_exception_fp_ieee_invalid_op 0
		.amdhsa_exception_fp_denorm_src 0
		.amdhsa_exception_fp_ieee_div_zero 0
		.amdhsa_exception_fp_ieee_overflow 0
		.amdhsa_exception_fp_ieee_underflow 0
		.amdhsa_exception_fp_ieee_inexact 0
		.amdhsa_exception_int_div_zero 0
	.end_amdhsa_kernel
	.section	.text._ZL24rocblas_symm_hemm_kernelILb1ELb0ELi32EPK19rocblas_complex_numIdES3_PS1_EvbiiT2_T3_lllS6_lllT4_llli,"axG",@progbits,_ZL24rocblas_symm_hemm_kernelILb1ELb0ELi32EPK19rocblas_complex_numIdES3_PS1_EvbiiT2_T3_lllS6_lllT4_llli,comdat
.Lfunc_end28:
	.size	_ZL24rocblas_symm_hemm_kernelILb1ELb0ELi32EPK19rocblas_complex_numIdES3_PS1_EvbiiT2_T3_lllS6_lllT4_llli, .Lfunc_end28-_ZL24rocblas_symm_hemm_kernelILb1ELb0ELi32EPK19rocblas_complex_numIdES3_PS1_EvbiiT2_T3_lllS6_lllT4_llli
                                        ; -- End function
	.section	.AMDGPU.csdata,"",@progbits
; Kernel info:
; codeLenInByte = 3128
; NumSgprs: 52
; NumVgprs: 46
; NumAgprs: 0
; TotalNumVgprs: 46
; ScratchSize: 0
; MemoryBound: 1
; FloatMode: 240
; IeeeMode: 1
; LDSByteSize: 32768 bytes/workgroup (compile time only)
; SGPRBlocks: 6
; VGPRBlocks: 5
; NumSGPRsForWavesPerEU: 52
; NumVGPRsForWavesPerEU: 46
; AccumOffset: 48
; Occupancy: 8
; WaveLimiterHint : 0
; COMPUTE_PGM_RSRC2:SCRATCH_EN: 0
; COMPUTE_PGM_RSRC2:USER_SGPR: 6
; COMPUTE_PGM_RSRC2:TRAP_HANDLER: 0
; COMPUTE_PGM_RSRC2:TGID_X_EN: 1
; COMPUTE_PGM_RSRC2:TGID_Y_EN: 1
; COMPUTE_PGM_RSRC2:TGID_Z_EN: 1
; COMPUTE_PGM_RSRC2:TIDIG_COMP_CNT: 1
; COMPUTE_PGM_RSRC3_GFX90A:ACCUM_OFFSET: 11
; COMPUTE_PGM_RSRC3_GFX90A:TG_SPLIT: 0
	.section	.text._ZL24rocblas_symm_hemm_kernelILb1ELb1ELi32EPK19rocblas_complex_numIdES3_PS1_EvbiiT2_T3_lllS6_lllT4_llli,"axG",@progbits,_ZL24rocblas_symm_hemm_kernelILb1ELb1ELi32EPK19rocblas_complex_numIdES3_PS1_EvbiiT2_T3_lllS6_lllT4_llli,comdat
	.globl	_ZL24rocblas_symm_hemm_kernelILb1ELb1ELi32EPK19rocblas_complex_numIdES3_PS1_EvbiiT2_T3_lllS6_lllT4_llli ; -- Begin function _ZL24rocblas_symm_hemm_kernelILb1ELb1ELi32EPK19rocblas_complex_numIdES3_PS1_EvbiiT2_T3_lllS6_lllT4_llli
	.p2align	8
	.type	_ZL24rocblas_symm_hemm_kernelILb1ELb1ELi32EPK19rocblas_complex_numIdES3_PS1_EvbiiT2_T3_lllS6_lllT4_llli,@function
_ZL24rocblas_symm_hemm_kernelILb1ELb1ELi32EPK19rocblas_complex_numIdES3_PS1_EvbiiT2_T3_lllS6_lllT4_llli: ; @_ZL24rocblas_symm_hemm_kernelILb1ELb1ELi32EPK19rocblas_complex_numIdES3_PS1_EvbiiT2_T3_lllS6_lllT4_llli
; %bb.0:
	s_load_dwordx16 s[12:27], s[4:5], 0x10
	s_waitcnt lgkmcnt(0)
	s_load_dwordx4 s[28:31], s[12:13], 0x0
	s_waitcnt lgkmcnt(0)
	v_cmp_eq_f64_e64 s[0:1], s[28:29], 0
	v_cmp_eq_f64_e64 s[2:3], s[30:31], 0
	s_and_b64 s[0:1], s[0:1], s[2:3]
	s_and_b64 vcc, exec, s[0:1]
	s_cbranch_vccnz .LBB29_21
; %bb.1:
	s_load_dwordx4 s[44:47], s[4:5], 0x0
	s_waitcnt lgkmcnt(0)
	s_add_i32 s0, s46, -1
	s_ashr_i32 s1, s0, 31
	s_lshr_b32 s1, s1, 27
	s_add_i32 s0, s0, s1
	s_ashr_i32 s33, s0, 5
	s_cmp_gt_i32 s7, s33
	s_cbranch_scc1 .LBB29_21
; %bb.2:
	s_mul_i32 s0, s8, s21
	s_mul_hi_u32 s1, s8, s20
	s_add_i32 s1, s1, s0
	s_mul_i32 s0, s8, s20
	s_lshl_b64 s[0:1], s[0:1], 4
	s_add_u32 s2, s14, s0
	s_addc_u32 s3, s15, s1
	s_lshl_b64 s[0:1], s[16:17], 4
	s_add_u32 s16, s2, s0
	s_addc_u32 s17, s3, s1
	s_load_dwordx2 s[2:3], s[4:5], 0x70
	s_load_dwordx8 s[36:43], s[4:5], 0x50
	s_load_dword s20, s[4:5], 0x84
	s_bitcmp1_b32 s44, 0
	s_cselect_b64 s[0:1], -1, 0
	v_and_b32_e32 v28, 0x3ff, v0
	s_waitcnt lgkmcnt(0)
	s_mul_i32 s3, s8, s3
	s_mul_hi_u32 s4, s8, s2
	s_add_i32 s3, s4, s3
	s_mul_i32 s2, s8, s2
	s_lshl_b64 s[2:3], s[2:3], 4
	s_add_u32 s4, s38, s2
	s_addc_u32 s5, s39, s3
	s_lshl_b64 s[2:3], s[40:41], 4
	s_add_u32 s4, s4, s2
	s_addc_u32 s5, s5, s3
	s_mul_i32 s2, s8, s37
	s_mul_hi_u32 s3, s8, s36
	s_add_i32 s3, s3, s2
	s_mul_i32 s2, s8, s36
	s_lshl_b64 s[2:3], s[2:3], 4
	s_add_u32 s8, s22, s2
	s_addc_u32 s9, s23, s3
	s_lshl_b64 s[2:3], s[24:25], 4
	v_lshl_add_u32 v2, s6, 5, v28
	s_add_u32 s8, s8, s2
	v_ashrrev_i32_e32 v3, 31, v2
	s_addc_u32 s9, s9, s3
	v_bfe_u32 v29, v0, 10, 10
	v_lshlrev_b64 v[0:1], 4, v[2:3]
	v_cmp_gt_i32_e64 s[2:3], s45, v2
	v_mov_b32_e32 v2, s9
	v_add_co_u32_e32 v30, vcc, s8, v0
	s_cmp_gt_i32 s46, 0
	v_addc_co_u32_e32 v31, vcc, v2, v1, vcc
	v_lshlrev_b32_e32 v2, 4, v29
	v_lshlrev_b32_e32 v32, 9, v28
	v_add_u32_e32 v33, v32, v2
	v_or_b32_e32 v34, 0x4000, v2
	v_mov_b32_e32 v2, s5
	v_add_co_u32_e32 v36, vcc, s4, v0
	v_lshl_add_u32 v0, s7, 5, v29
	s_cselect_b64 s[4:5], -1, 0
	v_sub_u32_e32 v38, 0, v0
	v_cndmask_b32_e64 v0, 0, 1, s[4:5]
	v_add_u32_e32 v35, v34, v32
	v_addc_co_u32_e32 v37, vcc, v2, v1, vcc
	s_lshl_b32 s6, s20, 5
	v_cmp_ne_u32_e64 s[4:5], 1, v0
	s_branch .LBB29_4
.LBB29_3:                               ;   in Loop: Header=BB29_4 Depth=1
	s_add_i32 s7, s7, s20
	s_cmp_gt_i32 s7, s33
	v_subrev_u32_e32 v38, s6, v38
	s_cbranch_scc1 .LBB29_21
.LBB29_4:                               ; =>This Loop Header: Depth=1
                                        ;     Child Loop BB29_7 Depth 2
	s_and_b64 vcc, exec, s[4:5]
	s_cbranch_vccnz .LBB29_3
; %bb.5:                                ;   in Loop: Header=BB29_4 Depth=1
	v_lshl_add_u32 v16, s7, 5, v29
	v_ashrrev_i32_e32 v17, 31, v16
	v_mul_lo_u32 v2, v17, s18
	v_mul_lo_u32 v3, v16, s19
	v_mad_u64_u32 v[0:1], s[8:9], v16, s18, 0
	v_add3_u32 v1, v1, v3, v2
	v_lshlrev_b64 v[0:1], 4, v[0:1]
	v_mov_b32_e32 v2, s17
	v_add_co_u32_e32 v39, vcc, s16, v0
	v_addc_co_u32_e32 v40, vcc, v2, v1, vcc
	v_lshlrev_b64 v[0:1], 4, v[16:17]
	v_add_co_u32_e32 v41, vcc, s16, v0
	v_addc_co_u32_e32 v42, vcc, v2, v1, vcc
	v_mul_lo_u32 v4, v17, s42
	v_mul_lo_u32 v5, v16, s43
	v_mad_u64_u32 v[2:3], s[8:9], v16, s42, 0
	v_add3_u32 v3, v3, v5, v4
	v_cmp_gt_i32_e32 vcc, s46, v16
	v_lshlrev_b64 v[2:3], 4, v[2:3]
	s_and_b64 s[10:11], s[2:3], vcc
	v_add_co_u32_e32 v18, vcc, v36, v2
	v_addc_co_u32_e32 v19, vcc, v37, v3, vcc
	v_add_co_u32_e32 v20, vcc, v39, v0
	v_addc_co_u32_e32 v21, vcc, v40, v1, vcc
	v_add_u32_e32 v17, v28, v38
	s_mov_b32 s21, 0
	s_branch .LBB29_7
.LBB29_6:                               ;   in Loop: Header=BB29_7 Depth=2
	s_or_b64 exec, exec, s[8:9]
	s_add_i32 s21, s21, 32
	s_cmp_ge_i32 s21, s46
	s_barrier
	s_cbranch_scc1 .LBB29_3
.LBB29_7:                               ;   Parent Loop BB29_4 Depth=1
                                        ; =>  This Inner Loop Header: Depth=2
	v_add_u32_e32 v6, s21, v29
	v_cmp_gt_i32_e32 vcc, s46, v6
	v_pk_mov_b32 v[0:1], 0, 0
	s_and_b64 s[12:13], s[2:3], vcc
	v_pk_mov_b32 v[2:3], v[0:1], v[0:1] op_sel:[0,1]
	v_pk_mov_b32 v[4:5], v[0:1], v[0:1] op_sel:[0,1]
	s_and_saveexec_b64 s[8:9], s[12:13]
	s_cbranch_execz .LBB29_9
; %bb.8:                                ;   in Loop: Header=BB29_7 Depth=2
	v_ashrrev_i32_e32 v2, 31, v6
	v_mul_lo_u32 v4, v6, s27
	v_mul_lo_u32 v5, v2, s26
	v_mad_u64_u32 v[2:3], s[12:13], v6, s26, 0
	v_add3_u32 v3, v3, v4, v5
	v_lshlrev_b64 v[2:3], 4, v[2:3]
	v_add_co_u32_e32 v2, vcc, v30, v2
	v_addc_co_u32_e32 v3, vcc, v31, v3, vcc
	global_load_dwordx4 v[2:5], v[2:3], off
.LBB29_9:                               ;   in Loop: Header=BB29_7 Depth=2
	s_or_b64 exec, exec, s[8:9]
	s_waitcnt vmcnt(0)
	ds_write_b128 v33, v[2:5]
	v_add_u32_e32 v4, s21, v28
	v_cndmask_b32_e64 v2, v16, v4, s[0:1]
	v_cndmask_b32_e64 v3, v4, v16, s[0:1]
	v_cmp_gt_i32_e64 s[8:9], v2, v3
	v_cmp_le_i32_e32 vcc, v2, v3
	v_cndmask_b32_e64 v2, v4, v16, s[8:9]
	v_cndmask_b32_e64 v3, v16, v4, s[8:9]
	v_max_i32_e32 v2, v2, v3
	v_cmp_gt_i32_e64 s[8:9], s46, v2
	v_pk_mov_b32 v[2:3], v[0:1], v[0:1] op_sel:[0,1]
	s_and_saveexec_b64 s[12:13], s[8:9]
	s_cbranch_execz .LBB29_19
; %bb.10:                               ;   in Loop: Header=BB29_7 Depth=2
                                        ; implicit-def: $vgpr2_vgpr3
	s_and_saveexec_b64 s[8:9], vcc
	s_xor_b64 s[8:9], exec, s[8:9]
	s_cbranch_execz .LBB29_16
; %bb.11:                               ;   in Loop: Header=BB29_7 Depth=2
	v_add_u32_e32 v0, s21, v17
	v_cmp_ne_u32_e32 vcc, 0, v0
                                        ; implicit-def: $vgpr2_vgpr3
	s_and_saveexec_b64 s[14:15], vcc
	s_xor_b64 s[14:15], exec, s[14:15]
	s_cbranch_execz .LBB29_13
; %bb.12:                               ;   in Loop: Header=BB29_7 Depth=2
	v_ashrrev_i32_e32 v5, 31, v4
	v_lshlrev_b64 v[0:1], 4, v[4:5]
	v_add_co_u32_e32 v0, vcc, v39, v0
	v_addc_co_u32_e32 v1, vcc, v40, v1, vcc
	global_load_dwordx4 v[0:3], v[0:1], off
.LBB29_13:                              ;   in Loop: Header=BB29_7 Depth=2
	s_andn2_saveexec_b64 s[14:15], s[14:15]
	s_cbranch_execz .LBB29_15
; %bb.14:                               ;   in Loop: Header=BB29_7 Depth=2
	global_load_dwordx2 v[0:1], v[20:21], off
	s_waitcnt vmcnt(1)
	v_pk_mov_b32 v[2:3], 0, 0
.LBB29_15:                              ;   in Loop: Header=BB29_7 Depth=2
	s_or_b64 exec, exec, s[14:15]
                                        ; implicit-def: $vgpr4
.LBB29_16:                              ;   in Loop: Header=BB29_7 Depth=2
	s_andn2_saveexec_b64 s[8:9], s[8:9]
	s_cbranch_execz .LBB29_18
; %bb.17:                               ;   in Loop: Header=BB29_7 Depth=2
	s_waitcnt vmcnt(0)
	v_ashrrev_i32_e32 v0, 31, v4
	v_mul_lo_u32 v2, v4, s19
	v_mul_lo_u32 v3, v0, s18
	v_mad_u64_u32 v[0:1], s[14:15], v4, s18, 0
	v_add3_u32 v1, v1, v2, v3
	v_lshlrev_b64 v[0:1], 4, v[0:1]
	v_add_co_u32_e32 v0, vcc, v41, v0
	v_addc_co_u32_e32 v1, vcc, v42, v1, vcc
	global_load_dwordx4 v[0:3], v[0:1], off
	s_waitcnt vmcnt(0)
	v_xor_b32_e32 v3, 0x80000000, v3
.LBB29_18:                              ;   in Loop: Header=BB29_7 Depth=2
	s_or_b64 exec, exec, s[8:9]
.LBB29_19:                              ;   in Loop: Header=BB29_7 Depth=2
	s_or_b64 exec, exec, s[12:13]
	s_waitcnt vmcnt(0)
	ds_write_b128 v35, v[0:3]
	s_waitcnt lgkmcnt(0)
	s_barrier
	s_and_saveexec_b64 s[8:9], s[10:11]
	s_cbranch_execz .LBB29_6
; %bb.20:                               ;   in Loop: Header=BB29_7 Depth=2
	ds_read_b128 v[0:3], v34
	ds_read_b128 v[4:7], v32
	ds_read_b128 v[8:11], v32 offset:16
	ds_read_b128 v[12:15], v32 offset:32
	;; [unrolled: 1-line block ×4, first 2 shown]
	s_waitcnt lgkmcnt(4)
	v_mul_f64 v[26:27], v[2:3], v[6:7]
	v_fma_f64 v[26:27], v[0:1], v[4:5], -v[26:27]
	v_mul_f64 v[0:1], v[0:1], v[6:7]
	v_fmac_f64_e32 v[0:1], v[2:3], v[4:5]
	v_add_f64 v[6:7], v[0:1], 0
	s_waitcnt lgkmcnt(0)
	v_mul_f64 v[0:1], v[46:47], v[10:11]
	v_add_f64 v[4:5], v[26:27], 0
	v_fma_f64 v[26:27], v[44:45], v[8:9], -v[0:1]
	ds_read_b128 v[0:3], v34 offset:1024
	v_mul_f64 v[10:11], v[44:45], v[10:11]
	v_fmac_f64_e32 v[10:11], v[46:47], v[8:9]
	v_add_f64 v[8:9], v[4:5], v[26:27]
	v_add_f64 v[10:11], v[6:7], v[10:11]
	ds_read_b128 v[4:7], v34 offset:1536
	s_waitcnt lgkmcnt(1)
	v_mul_f64 v[26:27], v[2:3], v[14:15]
	v_fma_f64 v[26:27], v[0:1], v[12:13], -v[26:27]
	v_mul_f64 v[0:1], v[0:1], v[14:15]
	v_fmac_f64_e32 v[0:1], v[2:3], v[12:13]
	v_add_f64 v[10:11], v[10:11], v[0:1]
	s_waitcnt lgkmcnt(0)
	v_mul_f64 v[0:1], v[6:7], v[24:25]
	v_mul_f64 v[14:15], v[4:5], v[24:25]
	v_add_f64 v[8:9], v[8:9], v[26:27]
	v_fma_f64 v[12:13], v[4:5], v[22:23], -v[0:1]
	v_fmac_f64_e32 v[14:15], v[6:7], v[22:23]
	ds_read_b128 v[0:3], v32 offset:64
	ds_read_b128 v[4:7], v34 offset:2048
	v_add_f64 v[22:23], v[8:9], v[12:13]
	v_add_f64 v[24:25], v[10:11], v[14:15]
	ds_read_b128 v[8:11], v34 offset:2560
	ds_read_b128 v[12:15], v32 offset:80
	s_waitcnt lgkmcnt(2)
	v_mul_f64 v[26:27], v[6:7], v[2:3]
	v_mul_f64 v[2:3], v[4:5], v[2:3]
	v_fma_f64 v[26:27], v[4:5], v[0:1], -v[26:27]
	v_fmac_f64_e32 v[2:3], v[6:7], v[0:1]
	s_waitcnt lgkmcnt(0)
	v_mul_f64 v[0:1], v[10:11], v[14:15]
	v_add_f64 v[22:23], v[22:23], v[26:27]
	v_fma_f64 v[26:27], v[8:9], v[12:13], -v[0:1]
	v_mul_f64 v[8:9], v[8:9], v[14:15]
	v_add_f64 v[24:25], v[24:25], v[2:3]
	v_fmac_f64_e32 v[8:9], v[10:11], v[12:13]
	ds_read_b128 v[0:3], v32 offset:96
	ds_read_b128 v[4:7], v34 offset:3072
	v_add_f64 v[24:25], v[24:25], v[8:9]
	ds_read_b128 v[8:11], v34 offset:3584
	ds_read_b128 v[12:15], v32 offset:112
	v_add_f64 v[22:23], v[22:23], v[26:27]
	s_waitcnt lgkmcnt(2)
	v_mul_f64 v[26:27], v[6:7], v[2:3]
	v_mul_f64 v[2:3], v[4:5], v[2:3]
	v_fma_f64 v[26:27], v[4:5], v[0:1], -v[26:27]
	v_fmac_f64_e32 v[2:3], v[6:7], v[0:1]
	s_waitcnt lgkmcnt(0)
	v_mul_f64 v[0:1], v[10:11], v[14:15]
	v_add_f64 v[22:23], v[22:23], v[26:27]
	v_fma_f64 v[26:27], v[8:9], v[12:13], -v[0:1]
	v_mul_f64 v[8:9], v[8:9], v[14:15]
	v_add_f64 v[24:25], v[24:25], v[2:3]
	v_fmac_f64_e32 v[8:9], v[10:11], v[12:13]
	ds_read_b128 v[0:3], v32 offset:128
	ds_read_b128 v[4:7], v34 offset:4096
	v_add_f64 v[24:25], v[24:25], v[8:9]
	ds_read_b128 v[8:11], v34 offset:4608
	ds_read_b128 v[12:15], v32 offset:144
	v_add_f64 v[22:23], v[22:23], v[26:27]
	;; [unrolled: 18-line block ×8, first 2 shown]
	s_waitcnt lgkmcnt(2)
	v_mul_f64 v[26:27], v[6:7], v[2:3]
	v_mul_f64 v[2:3], v[4:5], v[2:3]
	v_fma_f64 v[26:27], v[4:5], v[0:1], -v[26:27]
	v_fmac_f64_e32 v[2:3], v[6:7], v[0:1]
	s_waitcnt lgkmcnt(0)
	v_mul_f64 v[0:1], v[10:11], v[14:15]
	v_add_f64 v[22:23], v[22:23], v[26:27]
	v_fma_f64 v[26:27], v[8:9], v[12:13], -v[0:1]
	v_mul_f64 v[8:9], v[8:9], v[14:15]
	v_add_f64 v[24:25], v[24:25], v[2:3]
	v_fmac_f64_e32 v[8:9], v[10:11], v[12:13]
	ds_read_b128 v[0:3], v32 offset:352
	ds_read_b128 v[4:7], v34 offset:11264
	v_add_f64 v[24:25], v[24:25], v[8:9]
	ds_read_b128 v[8:11], v34 offset:11776
	ds_read_b128 v[12:15], v32 offset:368
	global_load_dwordx4 v[44:47], v[18:19], off
	v_add_f64 v[22:23], v[22:23], v[26:27]
	s_waitcnt lgkmcnt(2)
	v_mul_f64 v[26:27], v[6:7], v[2:3]
	v_mul_f64 v[2:3], v[4:5], v[2:3]
	v_fma_f64 v[26:27], v[4:5], v[0:1], -v[26:27]
	v_fmac_f64_e32 v[2:3], v[6:7], v[0:1]
	s_waitcnt lgkmcnt(0)
	v_mul_f64 v[0:1], v[10:11], v[14:15]
	v_add_f64 v[22:23], v[22:23], v[26:27]
	v_fma_f64 v[26:27], v[8:9], v[12:13], -v[0:1]
	v_mul_f64 v[8:9], v[8:9], v[14:15]
	v_add_f64 v[24:25], v[24:25], v[2:3]
	v_fmac_f64_e32 v[8:9], v[10:11], v[12:13]
	ds_read_b128 v[0:3], v32 offset:384
	ds_read_b128 v[4:7], v34 offset:12288
	v_add_f64 v[24:25], v[24:25], v[8:9]
	ds_read_b128 v[8:11], v34 offset:12800
	ds_read_b128 v[12:15], v32 offset:400
	v_add_f64 v[22:23], v[22:23], v[26:27]
	s_waitcnt lgkmcnt(2)
	v_mul_f64 v[26:27], v[6:7], v[2:3]
	v_mul_f64 v[2:3], v[4:5], v[2:3]
	v_fma_f64 v[26:27], v[4:5], v[0:1], -v[26:27]
	v_fmac_f64_e32 v[2:3], v[6:7], v[0:1]
	s_waitcnt lgkmcnt(0)
	v_mul_f64 v[0:1], v[10:11], v[14:15]
	v_add_f64 v[22:23], v[22:23], v[26:27]
	v_fma_f64 v[26:27], v[8:9], v[12:13], -v[0:1]
	v_mul_f64 v[8:9], v[8:9], v[14:15]
	v_add_f64 v[24:25], v[24:25], v[2:3]
	v_fmac_f64_e32 v[8:9], v[10:11], v[12:13]
	ds_read_b128 v[0:3], v32 offset:416
	ds_read_b128 v[4:7], v34 offset:13312
	v_add_f64 v[24:25], v[24:25], v[8:9]
	ds_read_b128 v[8:11], v34 offset:13824
	ds_read_b128 v[12:15], v32 offset:432
	;; [unrolled: 18-line block ×4, first 2 shown]
	v_add_f64 v[22:23], v[22:23], v[26:27]
	s_waitcnt lgkmcnt(2)
	v_mul_f64 v[26:27], v[6:7], v[2:3]
	v_mul_f64 v[2:3], v[4:5], v[2:3]
	v_fma_f64 v[26:27], v[4:5], v[0:1], -v[26:27]
	v_fmac_f64_e32 v[2:3], v[6:7], v[0:1]
	s_waitcnt lgkmcnt(0)
	v_mul_f64 v[4:5], v[10:11], v[14:15]
	v_mul_f64 v[6:7], v[8:9], v[14:15]
	v_add_f64 v[0:1], v[22:23], v[26:27]
	v_add_f64 v[2:3], v[24:25], v[2:3]
	v_fma_f64 v[4:5], v[8:9], v[12:13], -v[4:5]
	v_fmac_f64_e32 v[6:7], v[10:11], v[12:13]
	v_add_f64 v[0:1], v[0:1], v[4:5]
	v_add_f64 v[2:3], v[2:3], v[6:7]
	v_mul_f64 v[4:5], s[30:31], v[2:3]
	v_mul_f64 v[6:7], s[30:31], v[0:1]
	v_fma_f64 v[4:5], s[28:29], v[0:1], -v[4:5]
	v_fmac_f64_e32 v[6:7], s[28:29], v[2:3]
	s_waitcnt vmcnt(0)
	v_add_f64 v[0:1], v[44:45], v[4:5]
	v_add_f64 v[2:3], v[46:47], v[6:7]
	global_store_dwordx4 v[18:19], v[0:3], off
	s_branch .LBB29_6
.LBB29_21:
	s_endpgm
	.section	.rodata,"a",@progbits
	.p2align	6, 0x0
	.amdhsa_kernel _ZL24rocblas_symm_hemm_kernelILb1ELb1ELi32EPK19rocblas_complex_numIdES3_PS1_EvbiiT2_T3_lllS6_lllT4_llli
		.amdhsa_group_segment_fixed_size 32768
		.amdhsa_private_segment_fixed_size 0
		.amdhsa_kernarg_size 384
		.amdhsa_user_sgpr_count 6
		.amdhsa_user_sgpr_private_segment_buffer 1
		.amdhsa_user_sgpr_dispatch_ptr 0
		.amdhsa_user_sgpr_queue_ptr 0
		.amdhsa_user_sgpr_kernarg_segment_ptr 1
		.amdhsa_user_sgpr_dispatch_id 0
		.amdhsa_user_sgpr_flat_scratch_init 0
		.amdhsa_user_sgpr_kernarg_preload_length 0
		.amdhsa_user_sgpr_kernarg_preload_offset 0
		.amdhsa_user_sgpr_private_segment_size 0
		.amdhsa_uses_dynamic_stack 0
		.amdhsa_system_sgpr_private_segment_wavefront_offset 0
		.amdhsa_system_sgpr_workgroup_id_x 1
		.amdhsa_system_sgpr_workgroup_id_y 1
		.amdhsa_system_sgpr_workgroup_id_z 1
		.amdhsa_system_sgpr_workgroup_info 0
		.amdhsa_system_vgpr_workitem_id 1
		.amdhsa_next_free_vgpr 48
		.amdhsa_next_free_sgpr 48
		.amdhsa_accum_offset 48
		.amdhsa_reserve_vcc 1
		.amdhsa_reserve_flat_scratch 0
		.amdhsa_float_round_mode_32 0
		.amdhsa_float_round_mode_16_64 0
		.amdhsa_float_denorm_mode_32 3
		.amdhsa_float_denorm_mode_16_64 3
		.amdhsa_dx10_clamp 1
		.amdhsa_ieee_mode 1
		.amdhsa_fp16_overflow 0
		.amdhsa_tg_split 0
		.amdhsa_exception_fp_ieee_invalid_op 0
		.amdhsa_exception_fp_denorm_src 0
		.amdhsa_exception_fp_ieee_div_zero 0
		.amdhsa_exception_fp_ieee_overflow 0
		.amdhsa_exception_fp_ieee_underflow 0
		.amdhsa_exception_fp_ieee_inexact 0
		.amdhsa_exception_int_div_zero 0
	.end_amdhsa_kernel
	.section	.text._ZL24rocblas_symm_hemm_kernelILb1ELb1ELi32EPK19rocblas_complex_numIdES3_PS1_EvbiiT2_T3_lllS6_lllT4_llli,"axG",@progbits,_ZL24rocblas_symm_hemm_kernelILb1ELb1ELi32EPK19rocblas_complex_numIdES3_PS1_EvbiiT2_T3_lllS6_lllT4_llli,comdat
.Lfunc_end29:
	.size	_ZL24rocblas_symm_hemm_kernelILb1ELb1ELi32EPK19rocblas_complex_numIdES3_PS1_EvbiiT2_T3_lllS6_lllT4_llli, .Lfunc_end29-_ZL24rocblas_symm_hemm_kernelILb1ELb1ELi32EPK19rocblas_complex_numIdES3_PS1_EvbiiT2_T3_lllS6_lllT4_llli
                                        ; -- End function
	.section	.AMDGPU.csdata,"",@progbits
; Kernel info:
; codeLenInByte = 3112
; NumSgprs: 52
; NumVgprs: 48
; NumAgprs: 0
; TotalNumVgprs: 48
; ScratchSize: 0
; MemoryBound: 1
; FloatMode: 240
; IeeeMode: 1
; LDSByteSize: 32768 bytes/workgroup (compile time only)
; SGPRBlocks: 6
; VGPRBlocks: 5
; NumSGPRsForWavesPerEU: 52
; NumVGPRsForWavesPerEU: 48
; AccumOffset: 48
; Occupancy: 8
; WaveLimiterHint : 0
; COMPUTE_PGM_RSRC2:SCRATCH_EN: 0
; COMPUTE_PGM_RSRC2:USER_SGPR: 6
; COMPUTE_PGM_RSRC2:TRAP_HANDLER: 0
; COMPUTE_PGM_RSRC2:TGID_X_EN: 1
; COMPUTE_PGM_RSRC2:TGID_Y_EN: 1
; COMPUTE_PGM_RSRC2:TGID_Z_EN: 1
; COMPUTE_PGM_RSRC2:TIDIG_COMP_CNT: 1
; COMPUTE_PGM_RSRC3_GFX90A:ACCUM_OFFSET: 11
; COMPUTE_PGM_RSRC3_GFX90A:TG_SPLIT: 0
	.section	.text._ZL24rocblas_symm_hemm_kernelILb1ELb0ELi32E19rocblas_complex_numIdEPKS1_PS1_EvbiiT2_T3_lllS6_lllT4_llli,"axG",@progbits,_ZL24rocblas_symm_hemm_kernelILb1ELb0ELi32E19rocblas_complex_numIdEPKS1_PS1_EvbiiT2_T3_lllS6_lllT4_llli,comdat
	.globl	_ZL24rocblas_symm_hemm_kernelILb1ELb0ELi32E19rocblas_complex_numIdEPKS1_PS1_EvbiiT2_T3_lllS6_lllT4_llli ; -- Begin function _ZL24rocblas_symm_hemm_kernelILb1ELb0ELi32E19rocblas_complex_numIdEPKS1_PS1_EvbiiT2_T3_lllS6_lllT4_llli
	.p2align	8
	.type	_ZL24rocblas_symm_hemm_kernelILb1ELb0ELi32E19rocblas_complex_numIdEPKS1_PS1_EvbiiT2_T3_lllS6_lllT4_llli,@function
_ZL24rocblas_symm_hemm_kernelILb1ELb0ELi32E19rocblas_complex_numIdEPKS1_PS1_EvbiiT2_T3_lllS6_lllT4_llli: ; @_ZL24rocblas_symm_hemm_kernelILb1ELb0ELi32E19rocblas_complex_numIdEPKS1_PS1_EvbiiT2_T3_lllS6_lllT4_llli
; %bb.0:
	s_load_dwordx16 s[12:27], s[4:5], 0x10
	s_waitcnt lgkmcnt(0)
	v_cmp_eq_f64_e64 s[0:1], s[12:13], 0
	v_cmp_eq_f64_e64 s[2:3], s[14:15], 0
	s_and_b64 s[0:1], s[0:1], s[2:3]
	s_and_b64 vcc, exec, s[0:1]
	s_cbranch_vccnz .LBB30_21
; %bb.1:
	s_load_dwordx4 s[28:31], s[4:5], 0x0
	s_waitcnt lgkmcnt(0)
	s_add_i32 s0, s30, -1
	s_ashr_i32 s1, s0, 31
	s_lshr_b32 s1, s1, 27
	s_add_i32 s0, s0, s1
	s_ashr_i32 s31, s0, 5
	s_cmp_gt_i32 s7, s31
	s_cbranch_scc1 .LBB30_21
; %bb.2:
	s_load_dwordx8 s[36:43], s[4:5], 0x50
	v_and_b32_e32 v28, 0x3ff, v0
	v_lshl_add_u32 v16, s6, 5, v28
	v_ashrrev_i32_e32 v17, 31, v16
	v_bfe_u32 v29, v0, 10, 10
	s_waitcnt lgkmcnt(0)
	s_mul_i32 s1, s8, s39
	s_mul_hi_u32 s2, s8, s38
	s_mul_i32 s0, s8, s38
	s_add_i32 s1, s2, s1
	s_lshl_b64 s[0:1], s[0:1], 4
	s_add_u32 s2, s24, s0
	s_addc_u32 s3, s25, s1
	s_lshl_b64 s[0:1], s[26:27], 4
	s_load_dwordx4 s[24:27], s[4:5], 0x70
	s_add_u32 s33, s2, s0
	s_addc_u32 s34, s3, s1
	s_bitcmp1_b32 s28, 0
	s_load_dword s28, s[4:5], 0x8c
	s_waitcnt lgkmcnt(0)
	s_mul_i32 s2, s8, s27
	s_mul_hi_u32 s3, s8, s26
	s_cselect_b64 s[0:1], -1, 0
	s_add_i32 s3, s3, s2
	s_mul_i32 s2, s8, s26
	s_lshl_b64 s[2:3], s[2:3], 4
	s_add_u32 s4, s40, s2
	s_addc_u32 s5, s41, s3
	s_lshl_b64 s[2:3], s[42:43], 4
	s_add_u32 s4, s4, s2
	s_addc_u32 s5, s5, s3
	s_mul_i32 s2, s8, s23
	s_mul_hi_u32 s3, s8, s22
	s_add_i32 s3, s3, s2
	s_mul_i32 s2, s8, s22
	s_lshl_b64 s[2:3], s[2:3], 4
	s_add_u32 s8, s16, s2
	s_addc_u32 s9, s17, s3
	s_lshl_b64 s[2:3], s[18:19], 4
	s_add_u32 s8, s8, s2
	s_addc_u32 s9, s9, s3
	v_lshlrev_b64 v[0:1], 4, v[16:17]
	v_mov_b32_e32 v2, s9
	v_add_co_u32_e32 v30, vcc, s8, v0
	v_addc_co_u32_e32 v31, vcc, v2, v1, vcc
	v_mul_lo_u32 v4, v17, s20
	v_mul_lo_u32 v5, v16, s21
	v_mad_u64_u32 v[2:3], s[2:3], v16, s20, 0
	v_add3_u32 v3, v3, v5, v4
	v_lshlrev_b64 v[2:3], 4, v[2:3]
	v_mov_b32_e32 v4, s9
	v_add_co_u32_e32 v17, vcc, s8, v2
	v_addc_co_u32_e32 v32, vcc, v4, v3, vcc
	v_lshlrev_b32_e32 v4, 4, v29
	v_lshlrev_b32_e32 v33, 9, v28
	v_add_u32_e32 v34, v33, v4
	v_or_b32_e32 v35, 0x4000, v4
	v_mov_b32_e32 v4, s5
	v_add_co_u32_e32 v37, vcc, s4, v0
	v_addc_co_u32_e32 v38, vcc, v4, v1, vcc
	s_cmp_gt_i32 s29, 0
	v_add_co_u32_e32 v18, vcc, v30, v2
	v_add_u32_e32 v36, v35, v33
	v_cmp_gt_i32_e64 s[2:3], s29, v16
	v_addc_co_u32_e32 v19, vcc, v31, v3, vcc
	s_cselect_b64 s[10:11], -1, 0
	s_branch .LBB30_4
.LBB30_3:                               ;   in Loop: Header=BB30_4 Depth=1
	s_add_i32 s7, s7, s28
	s_cmp_gt_i32 s7, s31
	s_cbranch_scc1 .LBB30_21
.LBB30_4:                               ; =>This Loop Header: Depth=1
                                        ;     Child Loop BB30_7 Depth 2
	s_andn2_b64 vcc, exec, s[10:11]
	s_cbranch_vccnz .LBB30_3
; %bb.5:                                ;   in Loop: Header=BB30_4 Depth=1
	v_lshl_add_u32 v2, s7, 5, v29
	v_ashrrev_i32_e32 v3, 31, v2
	v_mul_lo_u32 v4, v3, s36
	v_mul_lo_u32 v5, v2, s37
	v_mad_u64_u32 v[0:1], s[4:5], v2, s36, 0
	v_add3_u32 v1, v1, v5, v4
	v_lshlrev_b64 v[0:1], 4, v[0:1]
	v_mov_b32_e32 v4, s34
	v_add_co_u32_e64 v39, s[4:5], s33, v0
	v_addc_co_u32_e64 v40, s[4:5], v4, v1, s[4:5]
	v_mul_lo_u32 v3, v3, s24
	v_mul_lo_u32 v4, v2, s25
	v_mad_u64_u32 v[0:1], s[4:5], v2, s24, 0
	v_add3_u32 v1, v1, v4, v3
	v_lshlrev_b64 v[0:1], 4, v[0:1]
	v_cmp_gt_i32_e32 vcc, s30, v2
	v_add_co_u32_e64 v20, s[4:5], v37, v0
	s_and_b64 s[16:17], s[2:3], vcc
	v_addc_co_u32_e64 v21, s[4:5], v38, v1, s[4:5]
	s_mov_b32 s6, 0
	s_branch .LBB30_7
.LBB30_6:                               ;   in Loop: Header=BB30_7 Depth=2
	s_or_b64 exec, exec, s[4:5]
	s_add_i32 s6, s6, 32
	s_cmp_ge_i32 s6, s29
	s_barrier
	s_cbranch_scc1 .LBB30_3
.LBB30_7:                               ;   Parent Loop BB30_4 Depth=1
                                        ; =>  This Inner Loop Header: Depth=2
	v_add_u32_e32 v6, s6, v29
	v_cndmask_b32_e64 v0, v6, v16, s[0:1]
	v_cndmask_b32_e64 v1, v16, v6, s[0:1]
	v_cmp_gt_i32_e64 s[8:9], v0, v1
	v_cmp_le_i32_e64 s[4:5], v0, v1
	v_cndmask_b32_e64 v0, v16, v6, s[8:9]
	v_cndmask_b32_e64 v1, v6, v16, s[8:9]
	v_max_i32_e32 v0, v0, v1
	v_cmp_gt_i32_e64 s[8:9], s29, v0
	v_pk_mov_b32 v[0:1], 0, 0
	v_pk_mov_b32 v[2:3], v[0:1], v[0:1] op_sel:[0,1]
	v_pk_mov_b32 v[4:5], v[0:1], v[0:1] op_sel:[0,1]
	s_and_saveexec_b64 s[18:19], s[8:9]
	s_cbranch_execz .LBB30_17
; %bb.8:                                ;   in Loop: Header=BB30_7 Depth=2
                                        ; implicit-def: $vgpr4_vgpr5
	s_and_saveexec_b64 s[8:9], s[4:5]
	s_xor_b64 s[8:9], exec, s[8:9]
	s_cbranch_execz .LBB30_14
; %bb.9:                                ;   in Loop: Header=BB30_7 Depth=2
	v_cmp_ne_u32_e64 s[4:5], v6, v16
                                        ; implicit-def: $vgpr4_vgpr5
	s_and_saveexec_b64 s[22:23], s[4:5]
	s_xor_b64 s[22:23], exec, s[22:23]
	s_cbranch_execz .LBB30_11
; %bb.10:                               ;   in Loop: Header=BB30_7 Depth=2
	v_ashrrev_i32_e32 v2, 31, v6
	v_mul_lo_u32 v4, v6, s21
	v_mul_lo_u32 v5, v2, s20
	v_mad_u64_u32 v[2:3], s[4:5], v6, s20, 0
	v_add3_u32 v3, v3, v4, v5
	v_lshlrev_b64 v[2:3], 4, v[2:3]
	v_add_co_u32_e64 v2, s[4:5], v30, v2
	v_addc_co_u32_e64 v3, s[4:5], v31, v3, s[4:5]
	global_load_dwordx4 v[2:5], v[2:3], off
.LBB30_11:                              ;   in Loop: Header=BB30_7 Depth=2
	s_andn2_saveexec_b64 s[4:5], s[22:23]
	s_cbranch_execz .LBB30_13
; %bb.12:                               ;   in Loop: Header=BB30_7 Depth=2
	global_load_dwordx2 v[2:3], v[18:19], off
	s_waitcnt vmcnt(1)
	v_pk_mov_b32 v[4:5], 0, 0
.LBB30_13:                              ;   in Loop: Header=BB30_7 Depth=2
	s_or_b64 exec, exec, s[4:5]
                                        ; implicit-def: $vgpr6
.LBB30_14:                              ;   in Loop: Header=BB30_7 Depth=2
	s_andn2_saveexec_b64 s[8:9], s[8:9]
	s_cbranch_execz .LBB30_16
; %bb.15:                               ;   in Loop: Header=BB30_7 Depth=2
	v_ashrrev_i32_e32 v7, 31, v6
	s_waitcnt vmcnt(0)
	v_lshlrev_b64 v[2:3], 4, v[6:7]
	v_add_co_u32_e64 v2, s[4:5], v17, v2
	v_addc_co_u32_e64 v3, s[4:5], v32, v3, s[4:5]
	global_load_dwordx4 v[2:5], v[2:3], off
	s_waitcnt vmcnt(0)
	v_xor_b32_e32 v5, 0x80000000, v5
.LBB30_16:                              ;   in Loop: Header=BB30_7 Depth=2
	s_or_b64 exec, exec, s[8:9]
.LBB30_17:                              ;   in Loop: Header=BB30_7 Depth=2
	s_or_b64 exec, exec, s[18:19]
	s_waitcnt vmcnt(0)
	ds_write_b128 v34, v[2:5]
	v_add_u32_e32 v4, s6, v28
	v_cmp_gt_i32_e64 s[4:5], s29, v4
	s_and_b64 s[4:5], s[4:5], vcc
	v_pk_mov_b32 v[2:3], v[0:1], v[0:1] op_sel:[0,1]
	s_and_saveexec_b64 s[8:9], s[4:5]
	s_cbranch_execz .LBB30_19
; %bb.18:                               ;   in Loop: Header=BB30_7 Depth=2
	v_ashrrev_i32_e32 v5, 31, v4
	v_lshlrev_b64 v[0:1], 4, v[4:5]
	v_add_co_u32_e64 v0, s[4:5], v39, v0
	v_addc_co_u32_e64 v1, s[4:5], v40, v1, s[4:5]
	global_load_dwordx4 v[0:3], v[0:1], off
.LBB30_19:                              ;   in Loop: Header=BB30_7 Depth=2
	s_or_b64 exec, exec, s[8:9]
	s_waitcnt vmcnt(0)
	ds_write_b128 v36, v[0:3]
	s_waitcnt lgkmcnt(0)
	s_barrier
	s_and_saveexec_b64 s[4:5], s[16:17]
	s_cbranch_execz .LBB30_6
; %bb.20:                               ;   in Loop: Header=BB30_7 Depth=2
	ds_read_b128 v[0:3], v35
	ds_read_b128 v[4:7], v33
	ds_read_b128 v[8:11], v33 offset:16
	ds_read_b128 v[12:15], v33 offset:32
	;; [unrolled: 1-line block ×4, first 2 shown]
	s_waitcnt lgkmcnt(4)
	v_mul_f64 v[26:27], v[2:3], v[6:7]
	v_fma_f64 v[26:27], v[0:1], v[4:5], -v[26:27]
	v_mul_f64 v[0:1], v[0:1], v[6:7]
	v_fmac_f64_e32 v[0:1], v[2:3], v[4:5]
	v_add_f64 v[6:7], v[0:1], 0
	s_waitcnt lgkmcnt(0)
	v_mul_f64 v[0:1], v[44:45], v[10:11]
	v_add_f64 v[4:5], v[26:27], 0
	v_fma_f64 v[26:27], v[42:43], v[8:9], -v[0:1]
	ds_read_b128 v[0:3], v35 offset:1024
	v_mul_f64 v[10:11], v[42:43], v[10:11]
	v_fmac_f64_e32 v[10:11], v[44:45], v[8:9]
	v_add_f64 v[8:9], v[4:5], v[26:27]
	v_add_f64 v[10:11], v[6:7], v[10:11]
	ds_read_b128 v[4:7], v35 offset:1536
	s_waitcnt lgkmcnt(1)
	v_mul_f64 v[26:27], v[2:3], v[14:15]
	v_fma_f64 v[26:27], v[0:1], v[12:13], -v[26:27]
	v_mul_f64 v[0:1], v[0:1], v[14:15]
	v_fmac_f64_e32 v[0:1], v[2:3], v[12:13]
	v_add_f64 v[10:11], v[10:11], v[0:1]
	s_waitcnt lgkmcnt(0)
	v_mul_f64 v[0:1], v[6:7], v[24:25]
	v_mul_f64 v[14:15], v[4:5], v[24:25]
	v_add_f64 v[8:9], v[8:9], v[26:27]
	v_fma_f64 v[12:13], v[4:5], v[22:23], -v[0:1]
	v_fmac_f64_e32 v[14:15], v[6:7], v[22:23]
	ds_read_b128 v[0:3], v33 offset:64
	ds_read_b128 v[4:7], v35 offset:2048
	v_add_f64 v[22:23], v[8:9], v[12:13]
	v_add_f64 v[24:25], v[10:11], v[14:15]
	ds_read_b128 v[8:11], v35 offset:2560
	ds_read_b128 v[12:15], v33 offset:80
	s_waitcnt lgkmcnt(2)
	v_mul_f64 v[26:27], v[6:7], v[2:3]
	v_mul_f64 v[2:3], v[4:5], v[2:3]
	v_fma_f64 v[26:27], v[4:5], v[0:1], -v[26:27]
	v_fmac_f64_e32 v[2:3], v[6:7], v[0:1]
	s_waitcnt lgkmcnt(0)
	v_mul_f64 v[0:1], v[10:11], v[14:15]
	v_add_f64 v[22:23], v[22:23], v[26:27]
	v_fma_f64 v[26:27], v[8:9], v[12:13], -v[0:1]
	v_mul_f64 v[8:9], v[8:9], v[14:15]
	v_add_f64 v[24:25], v[24:25], v[2:3]
	v_fmac_f64_e32 v[8:9], v[10:11], v[12:13]
	ds_read_b128 v[0:3], v33 offset:96
	ds_read_b128 v[4:7], v35 offset:3072
	v_add_f64 v[24:25], v[24:25], v[8:9]
	ds_read_b128 v[8:11], v35 offset:3584
	ds_read_b128 v[12:15], v33 offset:112
	v_add_f64 v[22:23], v[22:23], v[26:27]
	s_waitcnt lgkmcnt(2)
	v_mul_f64 v[26:27], v[6:7], v[2:3]
	v_mul_f64 v[2:3], v[4:5], v[2:3]
	v_fma_f64 v[26:27], v[4:5], v[0:1], -v[26:27]
	v_fmac_f64_e32 v[2:3], v[6:7], v[0:1]
	s_waitcnt lgkmcnt(0)
	v_mul_f64 v[0:1], v[10:11], v[14:15]
	v_add_f64 v[22:23], v[22:23], v[26:27]
	v_fma_f64 v[26:27], v[8:9], v[12:13], -v[0:1]
	v_mul_f64 v[8:9], v[8:9], v[14:15]
	v_add_f64 v[24:25], v[24:25], v[2:3]
	v_fmac_f64_e32 v[8:9], v[10:11], v[12:13]
	ds_read_b128 v[0:3], v33 offset:128
	ds_read_b128 v[4:7], v35 offset:4096
	v_add_f64 v[24:25], v[24:25], v[8:9]
	ds_read_b128 v[8:11], v35 offset:4608
	ds_read_b128 v[12:15], v33 offset:144
	v_add_f64 v[22:23], v[22:23], v[26:27]
	s_waitcnt lgkmcnt(2)
	v_mul_f64 v[26:27], v[6:7], v[2:3]
	v_mul_f64 v[2:3], v[4:5], v[2:3]
	v_fma_f64 v[26:27], v[4:5], v[0:1], -v[26:27]
	v_fmac_f64_e32 v[2:3], v[6:7], v[0:1]
	s_waitcnt lgkmcnt(0)
	v_mul_f64 v[0:1], v[10:11], v[14:15]
	v_add_f64 v[22:23], v[22:23], v[26:27]
	v_fma_f64 v[26:27], v[8:9], v[12:13], -v[0:1]
	v_mul_f64 v[8:9], v[8:9], v[14:15]
	v_add_f64 v[24:25], v[24:25], v[2:3]
	v_fmac_f64_e32 v[8:9], v[10:11], v[12:13]
	ds_read_b128 v[0:3], v33 offset:160
	ds_read_b128 v[4:7], v35 offset:5120
	v_add_f64 v[24:25], v[24:25], v[8:9]
	ds_read_b128 v[8:11], v35 offset:5632
	ds_read_b128 v[12:15], v33 offset:176
	v_add_f64 v[22:23], v[22:23], v[26:27]
	s_waitcnt lgkmcnt(2)
	v_mul_f64 v[26:27], v[6:7], v[2:3]
	v_mul_f64 v[2:3], v[4:5], v[2:3]
	v_fma_f64 v[26:27], v[4:5], v[0:1], -v[26:27]
	v_fmac_f64_e32 v[2:3], v[6:7], v[0:1]
	s_waitcnt lgkmcnt(0)
	v_mul_f64 v[0:1], v[10:11], v[14:15]
	v_add_f64 v[22:23], v[22:23], v[26:27]
	v_fma_f64 v[26:27], v[8:9], v[12:13], -v[0:1]
	v_mul_f64 v[8:9], v[8:9], v[14:15]
	v_add_f64 v[24:25], v[24:25], v[2:3]
	v_fmac_f64_e32 v[8:9], v[10:11], v[12:13]
	ds_read_b128 v[0:3], v33 offset:192
	ds_read_b128 v[4:7], v35 offset:6144
	v_add_f64 v[24:25], v[24:25], v[8:9]
	ds_read_b128 v[8:11], v35 offset:6656
	ds_read_b128 v[12:15], v33 offset:208
	v_add_f64 v[22:23], v[22:23], v[26:27]
	s_waitcnt lgkmcnt(2)
	v_mul_f64 v[26:27], v[6:7], v[2:3]
	v_mul_f64 v[2:3], v[4:5], v[2:3]
	v_fma_f64 v[26:27], v[4:5], v[0:1], -v[26:27]
	v_fmac_f64_e32 v[2:3], v[6:7], v[0:1]
	s_waitcnt lgkmcnt(0)
	v_mul_f64 v[0:1], v[10:11], v[14:15]
	v_add_f64 v[22:23], v[22:23], v[26:27]
	v_fma_f64 v[26:27], v[8:9], v[12:13], -v[0:1]
	v_mul_f64 v[8:9], v[8:9], v[14:15]
	v_add_f64 v[24:25], v[24:25], v[2:3]
	v_fmac_f64_e32 v[8:9], v[10:11], v[12:13]
	ds_read_b128 v[0:3], v33 offset:224
	ds_read_b128 v[4:7], v35 offset:7168
	v_add_f64 v[24:25], v[24:25], v[8:9]
	ds_read_b128 v[8:11], v35 offset:7680
	ds_read_b128 v[12:15], v33 offset:240
	v_add_f64 v[22:23], v[22:23], v[26:27]
	s_waitcnt lgkmcnt(2)
	v_mul_f64 v[26:27], v[6:7], v[2:3]
	v_mul_f64 v[2:3], v[4:5], v[2:3]
	v_fma_f64 v[26:27], v[4:5], v[0:1], -v[26:27]
	v_fmac_f64_e32 v[2:3], v[6:7], v[0:1]
	s_waitcnt lgkmcnt(0)
	v_mul_f64 v[0:1], v[10:11], v[14:15]
	v_add_f64 v[22:23], v[22:23], v[26:27]
	v_fma_f64 v[26:27], v[8:9], v[12:13], -v[0:1]
	v_mul_f64 v[8:9], v[8:9], v[14:15]
	v_add_f64 v[24:25], v[24:25], v[2:3]
	v_fmac_f64_e32 v[8:9], v[10:11], v[12:13]
	ds_read_b128 v[0:3], v33 offset:256
	ds_read_b128 v[4:7], v35 offset:8192
	v_add_f64 v[24:25], v[24:25], v[8:9]
	ds_read_b128 v[8:11], v35 offset:8704
	ds_read_b128 v[12:15], v33 offset:272
	v_add_f64 v[22:23], v[22:23], v[26:27]
	s_waitcnt lgkmcnt(2)
	v_mul_f64 v[26:27], v[6:7], v[2:3]
	v_mul_f64 v[2:3], v[4:5], v[2:3]
	v_fma_f64 v[26:27], v[4:5], v[0:1], -v[26:27]
	v_fmac_f64_e32 v[2:3], v[6:7], v[0:1]
	s_waitcnt lgkmcnt(0)
	v_mul_f64 v[0:1], v[10:11], v[14:15]
	v_add_f64 v[22:23], v[22:23], v[26:27]
	v_fma_f64 v[26:27], v[8:9], v[12:13], -v[0:1]
	v_mul_f64 v[8:9], v[8:9], v[14:15]
	v_add_f64 v[24:25], v[24:25], v[2:3]
	v_fmac_f64_e32 v[8:9], v[10:11], v[12:13]
	ds_read_b128 v[0:3], v33 offset:288
	ds_read_b128 v[4:7], v35 offset:9216
	v_add_f64 v[24:25], v[24:25], v[8:9]
	ds_read_b128 v[8:11], v35 offset:9728
	ds_read_b128 v[12:15], v33 offset:304
	v_add_f64 v[22:23], v[22:23], v[26:27]
	s_waitcnt lgkmcnt(2)
	v_mul_f64 v[26:27], v[6:7], v[2:3]
	v_mul_f64 v[2:3], v[4:5], v[2:3]
	v_fma_f64 v[26:27], v[4:5], v[0:1], -v[26:27]
	v_fmac_f64_e32 v[2:3], v[6:7], v[0:1]
	s_waitcnt lgkmcnt(0)
	v_mul_f64 v[0:1], v[10:11], v[14:15]
	v_add_f64 v[22:23], v[22:23], v[26:27]
	v_fma_f64 v[26:27], v[8:9], v[12:13], -v[0:1]
	v_mul_f64 v[8:9], v[8:9], v[14:15]
	v_add_f64 v[24:25], v[24:25], v[2:3]
	v_fmac_f64_e32 v[8:9], v[10:11], v[12:13]
	ds_read_b128 v[0:3], v33 offset:320
	ds_read_b128 v[4:7], v35 offset:10240
	v_add_f64 v[24:25], v[24:25], v[8:9]
	ds_read_b128 v[8:11], v35 offset:10752
	ds_read_b128 v[12:15], v33 offset:336
	v_add_f64 v[22:23], v[22:23], v[26:27]
	s_waitcnt lgkmcnt(2)
	v_mul_f64 v[26:27], v[6:7], v[2:3]
	v_mul_f64 v[2:3], v[4:5], v[2:3]
	v_fma_f64 v[26:27], v[4:5], v[0:1], -v[26:27]
	v_fmac_f64_e32 v[2:3], v[6:7], v[0:1]
	s_waitcnt lgkmcnt(0)
	v_mul_f64 v[0:1], v[10:11], v[14:15]
	v_add_f64 v[22:23], v[22:23], v[26:27]
	v_fma_f64 v[26:27], v[8:9], v[12:13], -v[0:1]
	v_mul_f64 v[8:9], v[8:9], v[14:15]
	v_add_f64 v[24:25], v[24:25], v[2:3]
	v_fmac_f64_e32 v[8:9], v[10:11], v[12:13]
	ds_read_b128 v[0:3], v33 offset:352
	ds_read_b128 v[4:7], v35 offset:11264
	v_add_f64 v[24:25], v[24:25], v[8:9]
	ds_read_b128 v[8:11], v35 offset:11776
	ds_read_b128 v[12:15], v33 offset:368
	global_load_dwordx4 v[42:45], v[20:21], off
	v_add_f64 v[22:23], v[22:23], v[26:27]
	s_waitcnt lgkmcnt(2)
	v_mul_f64 v[26:27], v[6:7], v[2:3]
	v_mul_f64 v[2:3], v[4:5], v[2:3]
	v_fma_f64 v[26:27], v[4:5], v[0:1], -v[26:27]
	v_fmac_f64_e32 v[2:3], v[6:7], v[0:1]
	s_waitcnt lgkmcnt(0)
	v_mul_f64 v[0:1], v[10:11], v[14:15]
	v_add_f64 v[22:23], v[22:23], v[26:27]
	v_fma_f64 v[26:27], v[8:9], v[12:13], -v[0:1]
	v_mul_f64 v[8:9], v[8:9], v[14:15]
	v_add_f64 v[24:25], v[24:25], v[2:3]
	v_fmac_f64_e32 v[8:9], v[10:11], v[12:13]
	ds_read_b128 v[0:3], v33 offset:384
	ds_read_b128 v[4:7], v35 offset:12288
	v_add_f64 v[24:25], v[24:25], v[8:9]
	ds_read_b128 v[8:11], v35 offset:12800
	ds_read_b128 v[12:15], v33 offset:400
	v_add_f64 v[22:23], v[22:23], v[26:27]
	s_waitcnt lgkmcnt(2)
	v_mul_f64 v[26:27], v[6:7], v[2:3]
	v_mul_f64 v[2:3], v[4:5], v[2:3]
	v_fma_f64 v[26:27], v[4:5], v[0:1], -v[26:27]
	v_fmac_f64_e32 v[2:3], v[6:7], v[0:1]
	s_waitcnt lgkmcnt(0)
	v_mul_f64 v[0:1], v[10:11], v[14:15]
	v_add_f64 v[22:23], v[22:23], v[26:27]
	v_fma_f64 v[26:27], v[8:9], v[12:13], -v[0:1]
	v_mul_f64 v[8:9], v[8:9], v[14:15]
	v_add_f64 v[24:25], v[24:25], v[2:3]
	v_fmac_f64_e32 v[8:9], v[10:11], v[12:13]
	ds_read_b128 v[0:3], v33 offset:416
	ds_read_b128 v[4:7], v35 offset:13312
	v_add_f64 v[24:25], v[24:25], v[8:9]
	ds_read_b128 v[8:11], v35 offset:13824
	ds_read_b128 v[12:15], v33 offset:432
	;; [unrolled: 18-line block ×4, first 2 shown]
	v_add_f64 v[22:23], v[22:23], v[26:27]
	s_waitcnt lgkmcnt(2)
	v_mul_f64 v[26:27], v[6:7], v[2:3]
	v_mul_f64 v[2:3], v[4:5], v[2:3]
	v_fma_f64 v[26:27], v[4:5], v[0:1], -v[26:27]
	v_fmac_f64_e32 v[2:3], v[6:7], v[0:1]
	s_waitcnt lgkmcnt(0)
	v_mul_f64 v[4:5], v[10:11], v[14:15]
	v_mul_f64 v[6:7], v[8:9], v[14:15]
	v_add_f64 v[0:1], v[22:23], v[26:27]
	v_add_f64 v[2:3], v[24:25], v[2:3]
	v_fma_f64 v[4:5], v[8:9], v[12:13], -v[4:5]
	v_fmac_f64_e32 v[6:7], v[10:11], v[12:13]
	v_add_f64 v[0:1], v[0:1], v[4:5]
	v_add_f64 v[2:3], v[2:3], v[6:7]
	v_mul_f64 v[4:5], s[14:15], v[2:3]
	v_mul_f64 v[6:7], s[14:15], v[0:1]
	v_fma_f64 v[4:5], s[12:13], v[0:1], -v[4:5]
	v_fmac_f64_e32 v[6:7], s[12:13], v[2:3]
	s_waitcnt vmcnt(0)
	v_add_f64 v[0:1], v[42:43], v[4:5]
	v_add_f64 v[2:3], v[44:45], v[6:7]
	global_store_dwordx4 v[20:21], v[0:3], off
	s_branch .LBB30_6
.LBB30_21:
	s_endpgm
	.section	.rodata,"a",@progbits
	.p2align	6, 0x0
	.amdhsa_kernel _ZL24rocblas_symm_hemm_kernelILb1ELb0ELi32E19rocblas_complex_numIdEPKS1_PS1_EvbiiT2_T3_lllS6_lllT4_llli
		.amdhsa_group_segment_fixed_size 32768
		.amdhsa_private_segment_fixed_size 0
		.amdhsa_kernarg_size 392
		.amdhsa_user_sgpr_count 6
		.amdhsa_user_sgpr_private_segment_buffer 1
		.amdhsa_user_sgpr_dispatch_ptr 0
		.amdhsa_user_sgpr_queue_ptr 0
		.amdhsa_user_sgpr_kernarg_segment_ptr 1
		.amdhsa_user_sgpr_dispatch_id 0
		.amdhsa_user_sgpr_flat_scratch_init 0
		.amdhsa_user_sgpr_kernarg_preload_length 0
		.amdhsa_user_sgpr_kernarg_preload_offset 0
		.amdhsa_user_sgpr_private_segment_size 0
		.amdhsa_uses_dynamic_stack 0
		.amdhsa_system_sgpr_private_segment_wavefront_offset 0
		.amdhsa_system_sgpr_workgroup_id_x 1
		.amdhsa_system_sgpr_workgroup_id_y 1
		.amdhsa_system_sgpr_workgroup_id_z 1
		.amdhsa_system_sgpr_workgroup_info 0
		.amdhsa_system_vgpr_workitem_id 1
		.amdhsa_next_free_vgpr 46
		.amdhsa_next_free_sgpr 44
		.amdhsa_accum_offset 48
		.amdhsa_reserve_vcc 1
		.amdhsa_reserve_flat_scratch 0
		.amdhsa_float_round_mode_32 0
		.amdhsa_float_round_mode_16_64 0
		.amdhsa_float_denorm_mode_32 3
		.amdhsa_float_denorm_mode_16_64 3
		.amdhsa_dx10_clamp 1
		.amdhsa_ieee_mode 1
		.amdhsa_fp16_overflow 0
		.amdhsa_tg_split 0
		.amdhsa_exception_fp_ieee_invalid_op 0
		.amdhsa_exception_fp_denorm_src 0
		.amdhsa_exception_fp_ieee_div_zero 0
		.amdhsa_exception_fp_ieee_overflow 0
		.amdhsa_exception_fp_ieee_underflow 0
		.amdhsa_exception_fp_ieee_inexact 0
		.amdhsa_exception_int_div_zero 0
	.end_amdhsa_kernel
	.section	.text._ZL24rocblas_symm_hemm_kernelILb1ELb0ELi32E19rocblas_complex_numIdEPKS1_PS1_EvbiiT2_T3_lllS6_lllT4_llli,"axG",@progbits,_ZL24rocblas_symm_hemm_kernelILb1ELb0ELi32E19rocblas_complex_numIdEPKS1_PS1_EvbiiT2_T3_lllS6_lllT4_llli,comdat
.Lfunc_end30:
	.size	_ZL24rocblas_symm_hemm_kernelILb1ELb0ELi32E19rocblas_complex_numIdEPKS1_PS1_EvbiiT2_T3_lllS6_lllT4_llli, .Lfunc_end30-_ZL24rocblas_symm_hemm_kernelILb1ELb0ELi32E19rocblas_complex_numIdEPKS1_PS1_EvbiiT2_T3_lllS6_lllT4_llli
                                        ; -- End function
	.section	.AMDGPU.csdata,"",@progbits
; Kernel info:
; codeLenInByte = 3116
; NumSgprs: 48
; NumVgprs: 46
; NumAgprs: 0
; TotalNumVgprs: 46
; ScratchSize: 0
; MemoryBound: 1
; FloatMode: 240
; IeeeMode: 1
; LDSByteSize: 32768 bytes/workgroup (compile time only)
; SGPRBlocks: 5
; VGPRBlocks: 5
; NumSGPRsForWavesPerEU: 48
; NumVGPRsForWavesPerEU: 46
; AccumOffset: 48
; Occupancy: 8
; WaveLimiterHint : 0
; COMPUTE_PGM_RSRC2:SCRATCH_EN: 0
; COMPUTE_PGM_RSRC2:USER_SGPR: 6
; COMPUTE_PGM_RSRC2:TRAP_HANDLER: 0
; COMPUTE_PGM_RSRC2:TGID_X_EN: 1
; COMPUTE_PGM_RSRC2:TGID_Y_EN: 1
; COMPUTE_PGM_RSRC2:TGID_Z_EN: 1
; COMPUTE_PGM_RSRC2:TIDIG_COMP_CNT: 1
; COMPUTE_PGM_RSRC3_GFX90A:ACCUM_OFFSET: 11
; COMPUTE_PGM_RSRC3_GFX90A:TG_SPLIT: 0
	.section	.text._ZL24rocblas_symm_hemm_kernelILb1ELb1ELi32E19rocblas_complex_numIdEPKS1_PS1_EvbiiT2_T3_lllS6_lllT4_llli,"axG",@progbits,_ZL24rocblas_symm_hemm_kernelILb1ELb1ELi32E19rocblas_complex_numIdEPKS1_PS1_EvbiiT2_T3_lllS6_lllT4_llli,comdat
	.globl	_ZL24rocblas_symm_hemm_kernelILb1ELb1ELi32E19rocblas_complex_numIdEPKS1_PS1_EvbiiT2_T3_lllS6_lllT4_llli ; -- Begin function _ZL24rocblas_symm_hemm_kernelILb1ELb1ELi32E19rocblas_complex_numIdEPKS1_PS1_EvbiiT2_T3_lllS6_lllT4_llli
	.p2align	8
	.type	_ZL24rocblas_symm_hemm_kernelILb1ELb1ELi32E19rocblas_complex_numIdEPKS1_PS1_EvbiiT2_T3_lllS6_lllT4_llli,@function
_ZL24rocblas_symm_hemm_kernelILb1ELb1ELi32E19rocblas_complex_numIdEPKS1_PS1_EvbiiT2_T3_lllS6_lllT4_llli: ; @_ZL24rocblas_symm_hemm_kernelILb1ELb1ELi32E19rocblas_complex_numIdEPKS1_PS1_EvbiiT2_T3_lllS6_lllT4_llli
; %bb.0:
	s_load_dwordx16 s[12:27], s[4:5], 0x10
	s_waitcnt lgkmcnt(0)
	v_cmp_eq_f64_e64 s[0:1], s[12:13], 0
	v_cmp_eq_f64_e64 s[2:3], s[14:15], 0
	s_and_b64 s[0:1], s[0:1], s[2:3]
	s_and_b64 vcc, exec, s[0:1]
	s_cbranch_vccnz .LBB31_21
; %bb.1:
	s_load_dwordx4 s[28:31], s[4:5], 0x0
	s_waitcnt lgkmcnt(0)
	s_add_i32 s0, s30, -1
	s_ashr_i32 s1, s0, 31
	s_lshr_b32 s1, s1, 27
	s_add_i32 s0, s0, s1
	s_ashr_i32 s31, s0, 5
	s_cmp_gt_i32 s7, s31
	s_cbranch_scc1 .LBB31_21
; %bb.2:
	s_mul_i32 s0, s8, s23
	s_mul_hi_u32 s1, s8, s22
	s_add_i32 s1, s1, s0
	s_mul_i32 s0, s8, s22
	s_lshl_b64 s[0:1], s[0:1], 4
	s_add_u32 s2, s16, s0
	s_addc_u32 s3, s17, s1
	s_lshl_b64 s[0:1], s[18:19], 4
	s_load_dwordx4 s[16:19], s[4:5], 0x70
	s_add_u32 s33, s2, s0
	s_addc_u32 s34, s3, s1
	s_bitcmp1_b32 s28, 0
	s_load_dwordx8 s[36:43], s[4:5], 0x50
	s_load_dword s28, s[4:5], 0x8c
	s_waitcnt lgkmcnt(0)
	s_mul_i32 s2, s8, s19
	s_mul_hi_u32 s3, s8, s18
	s_cselect_b64 s[0:1], -1, 0
	s_add_i32 s3, s3, s2
	s_mul_i32 s2, s8, s18
	s_lshl_b64 s[2:3], s[2:3], 4
	s_add_u32 s4, s40, s2
	s_addc_u32 s5, s41, s3
	s_lshl_b64 s[2:3], s[42:43], 4
	s_add_u32 s4, s4, s2
	s_addc_u32 s5, s5, s3
	s_mul_i32 s2, s8, s39
	s_mul_hi_u32 s3, s8, s38
	s_add_i32 s3, s3, s2
	s_mul_i32 s2, s8, s38
	s_lshl_b64 s[2:3], s[2:3], 4
	s_add_u32 s8, s24, s2
	v_and_b32_e32 v28, 0x3ff, v0
	s_addc_u32 s9, s25, s3
	s_lshl_b64 s[2:3], s[26:27], 4
	v_lshl_add_u32 v2, s6, 5, v28
	s_add_u32 s8, s8, s2
	v_ashrrev_i32_e32 v3, 31, v2
	s_addc_u32 s9, s9, s3
	v_bfe_u32 v29, v0, 10, 10
	v_lshlrev_b64 v[0:1], 4, v[2:3]
	v_cmp_gt_i32_e64 s[2:3], s29, v2
	v_mov_b32_e32 v2, s9
	v_add_co_u32_e32 v30, vcc, s8, v0
	v_addc_co_u32_e32 v31, vcc, v2, v1, vcc
	v_lshlrev_b32_e32 v2, 4, v29
	v_lshlrev_b32_e32 v32, 9, v28
	s_cmp_gt_i32 s30, 0
	v_add_u32_e32 v33, v32, v2
	v_or_b32_e32 v34, 0x4000, v2
	v_mov_b32_e32 v2, s5
	v_add_co_u32_e32 v36, vcc, s4, v0
	v_lshl_add_u32 v0, s7, 5, v29
	v_add_u32_e32 v35, v34, v32
	v_addc_co_u32_e32 v37, vcc, v2, v1, vcc
	v_sub_u32_e32 v38, 0, v0
	s_cselect_b64 s[8:9], -1, 0
	s_lshl_b32 s6, s28, 5
	s_branch .LBB31_4
.LBB31_3:                               ;   in Loop: Header=BB31_4 Depth=1
	s_add_i32 s7, s7, s28
	s_cmp_gt_i32 s7, s31
	v_subrev_u32_e32 v38, s6, v38
	s_cbranch_scc1 .LBB31_21
.LBB31_4:                               ; =>This Loop Header: Depth=1
                                        ;     Child Loop BB31_7 Depth 2
	s_andn2_b64 vcc, exec, s[8:9]
	s_cbranch_vccnz .LBB31_3
; %bb.5:                                ;   in Loop: Header=BB31_4 Depth=1
	v_lshl_add_u32 v16, s7, 5, v29
	v_ashrrev_i32_e32 v17, 31, v16
	v_mul_lo_u32 v2, v17, s20
	v_mul_lo_u32 v3, v16, s21
	v_mad_u64_u32 v[0:1], s[4:5], v16, s20, 0
	v_add3_u32 v1, v1, v3, v2
	v_lshlrev_b64 v[0:1], 4, v[0:1]
	v_mov_b32_e32 v2, s34
	v_add_co_u32_e32 v39, vcc, s33, v0
	v_addc_co_u32_e32 v40, vcc, v2, v1, vcc
	v_lshlrev_b64 v[0:1], 4, v[16:17]
	v_add_co_u32_e32 v41, vcc, s33, v0
	v_addc_co_u32_e32 v42, vcc, v2, v1, vcc
	v_mul_lo_u32 v4, v17, s16
	v_mul_lo_u32 v5, v16, s17
	v_mad_u64_u32 v[2:3], s[4:5], v16, s16, 0
	v_add3_u32 v3, v3, v5, v4
	v_cmp_gt_i32_e32 vcc, s30, v16
	v_lshlrev_b64 v[2:3], 4, v[2:3]
	s_and_b64 s[10:11], s[2:3], vcc
	v_add_co_u32_e32 v18, vcc, v36, v2
	v_addc_co_u32_e32 v19, vcc, v37, v3, vcc
	v_add_co_u32_e32 v20, vcc, v39, v0
	v_addc_co_u32_e32 v21, vcc, v40, v1, vcc
	v_add_u32_e32 v17, v28, v38
	s_mov_b32 s24, 0
	s_branch .LBB31_7
.LBB31_6:                               ;   in Loop: Header=BB31_7 Depth=2
	s_or_b64 exec, exec, s[4:5]
	s_add_i32 s24, s24, 32
	s_cmp_ge_i32 s24, s30
	s_barrier
	s_cbranch_scc1 .LBB31_3
.LBB31_7:                               ;   Parent Loop BB31_4 Depth=1
                                        ; =>  This Inner Loop Header: Depth=2
	v_add_u32_e32 v6, s24, v29
	v_cmp_gt_i32_e32 vcc, s30, v6
	v_pk_mov_b32 v[0:1], 0, 0
	s_and_b64 s[18:19], s[2:3], vcc
	v_pk_mov_b32 v[2:3], v[0:1], v[0:1] op_sel:[0,1]
	v_pk_mov_b32 v[4:5], v[0:1], v[0:1] op_sel:[0,1]
	s_and_saveexec_b64 s[4:5], s[18:19]
	s_cbranch_execz .LBB31_9
; %bb.8:                                ;   in Loop: Header=BB31_7 Depth=2
	v_ashrrev_i32_e32 v2, 31, v6
	v_mul_lo_u32 v4, v6, s37
	v_mul_lo_u32 v5, v2, s36
	v_mad_u64_u32 v[2:3], s[18:19], v6, s36, 0
	v_add3_u32 v3, v3, v4, v5
	v_lshlrev_b64 v[2:3], 4, v[2:3]
	v_add_co_u32_e32 v2, vcc, v30, v2
	v_addc_co_u32_e32 v3, vcc, v31, v3, vcc
	global_load_dwordx4 v[2:5], v[2:3], off
.LBB31_9:                               ;   in Loop: Header=BB31_7 Depth=2
	s_or_b64 exec, exec, s[4:5]
	s_waitcnt vmcnt(0)
	ds_write_b128 v33, v[2:5]
	v_add_u32_e32 v4, s24, v28
	v_cndmask_b32_e64 v2, v16, v4, s[0:1]
	v_cndmask_b32_e64 v3, v4, v16, s[0:1]
	v_cmp_gt_i32_e64 s[4:5], v2, v3
	v_cmp_le_i32_e32 vcc, v2, v3
	v_cndmask_b32_e64 v2, v4, v16, s[4:5]
	v_cndmask_b32_e64 v3, v16, v4, s[4:5]
	v_max_i32_e32 v2, v2, v3
	v_cmp_gt_i32_e64 s[4:5], s30, v2
	v_pk_mov_b32 v[2:3], v[0:1], v[0:1] op_sel:[0,1]
	s_and_saveexec_b64 s[18:19], s[4:5]
	s_cbranch_execz .LBB31_19
; %bb.10:                               ;   in Loop: Header=BB31_7 Depth=2
                                        ; implicit-def: $vgpr2_vgpr3
	s_and_saveexec_b64 s[4:5], vcc
	s_xor_b64 s[4:5], exec, s[4:5]
	s_cbranch_execz .LBB31_16
; %bb.11:                               ;   in Loop: Header=BB31_7 Depth=2
	v_add_u32_e32 v0, s24, v17
	v_cmp_ne_u32_e32 vcc, 0, v0
                                        ; implicit-def: $vgpr2_vgpr3
	s_and_saveexec_b64 s[22:23], vcc
	s_xor_b64 s[22:23], exec, s[22:23]
	s_cbranch_execz .LBB31_13
; %bb.12:                               ;   in Loop: Header=BB31_7 Depth=2
	v_ashrrev_i32_e32 v5, 31, v4
	v_lshlrev_b64 v[0:1], 4, v[4:5]
	v_add_co_u32_e32 v0, vcc, v39, v0
	v_addc_co_u32_e32 v1, vcc, v40, v1, vcc
	global_load_dwordx4 v[0:3], v[0:1], off
.LBB31_13:                              ;   in Loop: Header=BB31_7 Depth=2
	s_andn2_saveexec_b64 s[22:23], s[22:23]
	s_cbranch_execz .LBB31_15
; %bb.14:                               ;   in Loop: Header=BB31_7 Depth=2
	global_load_dwordx2 v[0:1], v[20:21], off
	s_waitcnt vmcnt(1)
	v_pk_mov_b32 v[2:3], 0, 0
.LBB31_15:                              ;   in Loop: Header=BB31_7 Depth=2
	s_or_b64 exec, exec, s[22:23]
                                        ; implicit-def: $vgpr4
.LBB31_16:                              ;   in Loop: Header=BB31_7 Depth=2
	s_andn2_saveexec_b64 s[4:5], s[4:5]
	s_cbranch_execz .LBB31_18
; %bb.17:                               ;   in Loop: Header=BB31_7 Depth=2
	s_waitcnt vmcnt(0)
	v_ashrrev_i32_e32 v0, 31, v4
	v_mul_lo_u32 v2, v4, s21
	v_mul_lo_u32 v3, v0, s20
	v_mad_u64_u32 v[0:1], s[22:23], v4, s20, 0
	v_add3_u32 v1, v1, v2, v3
	v_lshlrev_b64 v[0:1], 4, v[0:1]
	v_add_co_u32_e32 v0, vcc, v41, v0
	v_addc_co_u32_e32 v1, vcc, v42, v1, vcc
	global_load_dwordx4 v[0:3], v[0:1], off
	s_waitcnt vmcnt(0)
	v_xor_b32_e32 v3, 0x80000000, v3
.LBB31_18:                              ;   in Loop: Header=BB31_7 Depth=2
	s_or_b64 exec, exec, s[4:5]
.LBB31_19:                              ;   in Loop: Header=BB31_7 Depth=2
	s_or_b64 exec, exec, s[18:19]
	s_waitcnt vmcnt(0)
	ds_write_b128 v35, v[0:3]
	s_waitcnt lgkmcnt(0)
	s_barrier
	s_and_saveexec_b64 s[4:5], s[10:11]
	s_cbranch_execz .LBB31_6
; %bb.20:                               ;   in Loop: Header=BB31_7 Depth=2
	ds_read_b128 v[0:3], v34
	ds_read_b128 v[4:7], v32
	ds_read_b128 v[8:11], v32 offset:16
	ds_read_b128 v[12:15], v32 offset:32
	;; [unrolled: 1-line block ×4, first 2 shown]
	s_waitcnt lgkmcnt(4)
	v_mul_f64 v[26:27], v[2:3], v[6:7]
	v_fma_f64 v[26:27], v[0:1], v[4:5], -v[26:27]
	v_mul_f64 v[0:1], v[0:1], v[6:7]
	v_fmac_f64_e32 v[0:1], v[2:3], v[4:5]
	v_add_f64 v[6:7], v[0:1], 0
	s_waitcnt lgkmcnt(0)
	v_mul_f64 v[0:1], v[46:47], v[10:11]
	v_add_f64 v[4:5], v[26:27], 0
	v_fma_f64 v[26:27], v[44:45], v[8:9], -v[0:1]
	ds_read_b128 v[0:3], v34 offset:1024
	v_mul_f64 v[10:11], v[44:45], v[10:11]
	v_fmac_f64_e32 v[10:11], v[46:47], v[8:9]
	v_add_f64 v[8:9], v[4:5], v[26:27]
	v_add_f64 v[10:11], v[6:7], v[10:11]
	ds_read_b128 v[4:7], v34 offset:1536
	s_waitcnt lgkmcnt(1)
	v_mul_f64 v[26:27], v[2:3], v[14:15]
	v_fma_f64 v[26:27], v[0:1], v[12:13], -v[26:27]
	v_mul_f64 v[0:1], v[0:1], v[14:15]
	v_fmac_f64_e32 v[0:1], v[2:3], v[12:13]
	v_add_f64 v[10:11], v[10:11], v[0:1]
	s_waitcnt lgkmcnt(0)
	v_mul_f64 v[0:1], v[6:7], v[24:25]
	v_mul_f64 v[14:15], v[4:5], v[24:25]
	v_add_f64 v[8:9], v[8:9], v[26:27]
	v_fma_f64 v[12:13], v[4:5], v[22:23], -v[0:1]
	v_fmac_f64_e32 v[14:15], v[6:7], v[22:23]
	ds_read_b128 v[0:3], v32 offset:64
	ds_read_b128 v[4:7], v34 offset:2048
	v_add_f64 v[22:23], v[8:9], v[12:13]
	v_add_f64 v[24:25], v[10:11], v[14:15]
	ds_read_b128 v[8:11], v34 offset:2560
	ds_read_b128 v[12:15], v32 offset:80
	s_waitcnt lgkmcnt(2)
	v_mul_f64 v[26:27], v[6:7], v[2:3]
	v_mul_f64 v[2:3], v[4:5], v[2:3]
	v_fma_f64 v[26:27], v[4:5], v[0:1], -v[26:27]
	v_fmac_f64_e32 v[2:3], v[6:7], v[0:1]
	s_waitcnt lgkmcnt(0)
	v_mul_f64 v[0:1], v[10:11], v[14:15]
	v_add_f64 v[22:23], v[22:23], v[26:27]
	v_fma_f64 v[26:27], v[8:9], v[12:13], -v[0:1]
	v_mul_f64 v[8:9], v[8:9], v[14:15]
	v_add_f64 v[24:25], v[24:25], v[2:3]
	v_fmac_f64_e32 v[8:9], v[10:11], v[12:13]
	ds_read_b128 v[0:3], v32 offset:96
	ds_read_b128 v[4:7], v34 offset:3072
	v_add_f64 v[24:25], v[24:25], v[8:9]
	ds_read_b128 v[8:11], v34 offset:3584
	ds_read_b128 v[12:15], v32 offset:112
	v_add_f64 v[22:23], v[22:23], v[26:27]
	s_waitcnt lgkmcnt(2)
	v_mul_f64 v[26:27], v[6:7], v[2:3]
	v_mul_f64 v[2:3], v[4:5], v[2:3]
	v_fma_f64 v[26:27], v[4:5], v[0:1], -v[26:27]
	v_fmac_f64_e32 v[2:3], v[6:7], v[0:1]
	s_waitcnt lgkmcnt(0)
	v_mul_f64 v[0:1], v[10:11], v[14:15]
	v_add_f64 v[22:23], v[22:23], v[26:27]
	v_fma_f64 v[26:27], v[8:9], v[12:13], -v[0:1]
	v_mul_f64 v[8:9], v[8:9], v[14:15]
	v_add_f64 v[24:25], v[24:25], v[2:3]
	v_fmac_f64_e32 v[8:9], v[10:11], v[12:13]
	ds_read_b128 v[0:3], v32 offset:128
	ds_read_b128 v[4:7], v34 offset:4096
	v_add_f64 v[24:25], v[24:25], v[8:9]
	ds_read_b128 v[8:11], v34 offset:4608
	ds_read_b128 v[12:15], v32 offset:144
	v_add_f64 v[22:23], v[22:23], v[26:27]
	;; [unrolled: 18-line block ×8, first 2 shown]
	s_waitcnt lgkmcnt(2)
	v_mul_f64 v[26:27], v[6:7], v[2:3]
	v_mul_f64 v[2:3], v[4:5], v[2:3]
	v_fma_f64 v[26:27], v[4:5], v[0:1], -v[26:27]
	v_fmac_f64_e32 v[2:3], v[6:7], v[0:1]
	s_waitcnt lgkmcnt(0)
	v_mul_f64 v[0:1], v[10:11], v[14:15]
	v_add_f64 v[22:23], v[22:23], v[26:27]
	v_fma_f64 v[26:27], v[8:9], v[12:13], -v[0:1]
	v_mul_f64 v[8:9], v[8:9], v[14:15]
	v_add_f64 v[24:25], v[24:25], v[2:3]
	v_fmac_f64_e32 v[8:9], v[10:11], v[12:13]
	ds_read_b128 v[0:3], v32 offset:352
	ds_read_b128 v[4:7], v34 offset:11264
	v_add_f64 v[24:25], v[24:25], v[8:9]
	ds_read_b128 v[8:11], v34 offset:11776
	ds_read_b128 v[12:15], v32 offset:368
	global_load_dwordx4 v[44:47], v[18:19], off
	v_add_f64 v[22:23], v[22:23], v[26:27]
	s_waitcnt lgkmcnt(2)
	v_mul_f64 v[26:27], v[6:7], v[2:3]
	v_mul_f64 v[2:3], v[4:5], v[2:3]
	v_fma_f64 v[26:27], v[4:5], v[0:1], -v[26:27]
	v_fmac_f64_e32 v[2:3], v[6:7], v[0:1]
	s_waitcnt lgkmcnt(0)
	v_mul_f64 v[0:1], v[10:11], v[14:15]
	v_add_f64 v[22:23], v[22:23], v[26:27]
	v_fma_f64 v[26:27], v[8:9], v[12:13], -v[0:1]
	v_mul_f64 v[8:9], v[8:9], v[14:15]
	v_add_f64 v[24:25], v[24:25], v[2:3]
	v_fmac_f64_e32 v[8:9], v[10:11], v[12:13]
	ds_read_b128 v[0:3], v32 offset:384
	ds_read_b128 v[4:7], v34 offset:12288
	v_add_f64 v[24:25], v[24:25], v[8:9]
	ds_read_b128 v[8:11], v34 offset:12800
	ds_read_b128 v[12:15], v32 offset:400
	v_add_f64 v[22:23], v[22:23], v[26:27]
	s_waitcnt lgkmcnt(2)
	v_mul_f64 v[26:27], v[6:7], v[2:3]
	v_mul_f64 v[2:3], v[4:5], v[2:3]
	v_fma_f64 v[26:27], v[4:5], v[0:1], -v[26:27]
	v_fmac_f64_e32 v[2:3], v[6:7], v[0:1]
	s_waitcnt lgkmcnt(0)
	v_mul_f64 v[0:1], v[10:11], v[14:15]
	v_add_f64 v[22:23], v[22:23], v[26:27]
	v_fma_f64 v[26:27], v[8:9], v[12:13], -v[0:1]
	v_mul_f64 v[8:9], v[8:9], v[14:15]
	v_add_f64 v[24:25], v[24:25], v[2:3]
	v_fmac_f64_e32 v[8:9], v[10:11], v[12:13]
	ds_read_b128 v[0:3], v32 offset:416
	ds_read_b128 v[4:7], v34 offset:13312
	v_add_f64 v[24:25], v[24:25], v[8:9]
	ds_read_b128 v[8:11], v34 offset:13824
	ds_read_b128 v[12:15], v32 offset:432
	;; [unrolled: 18-line block ×4, first 2 shown]
	v_add_f64 v[22:23], v[22:23], v[26:27]
	s_waitcnt lgkmcnt(2)
	v_mul_f64 v[26:27], v[6:7], v[2:3]
	v_mul_f64 v[2:3], v[4:5], v[2:3]
	v_fma_f64 v[26:27], v[4:5], v[0:1], -v[26:27]
	v_fmac_f64_e32 v[2:3], v[6:7], v[0:1]
	s_waitcnt lgkmcnt(0)
	v_mul_f64 v[4:5], v[10:11], v[14:15]
	v_mul_f64 v[6:7], v[8:9], v[14:15]
	v_add_f64 v[0:1], v[22:23], v[26:27]
	v_add_f64 v[2:3], v[24:25], v[2:3]
	v_fma_f64 v[4:5], v[8:9], v[12:13], -v[4:5]
	v_fmac_f64_e32 v[6:7], v[10:11], v[12:13]
	v_add_f64 v[0:1], v[0:1], v[4:5]
	v_add_f64 v[2:3], v[2:3], v[6:7]
	v_mul_f64 v[4:5], s[14:15], v[2:3]
	v_mul_f64 v[6:7], s[14:15], v[0:1]
	v_fma_f64 v[4:5], s[12:13], v[0:1], -v[4:5]
	v_fmac_f64_e32 v[6:7], s[12:13], v[2:3]
	s_waitcnt vmcnt(0)
	v_add_f64 v[0:1], v[44:45], v[4:5]
	v_add_f64 v[2:3], v[46:47], v[6:7]
	global_store_dwordx4 v[18:19], v[0:3], off
	s_branch .LBB31_6
.LBB31_21:
	s_endpgm
	.section	.rodata,"a",@progbits
	.p2align	6, 0x0
	.amdhsa_kernel _ZL24rocblas_symm_hemm_kernelILb1ELb1ELi32E19rocblas_complex_numIdEPKS1_PS1_EvbiiT2_T3_lllS6_lllT4_llli
		.amdhsa_group_segment_fixed_size 32768
		.amdhsa_private_segment_fixed_size 0
		.amdhsa_kernarg_size 392
		.amdhsa_user_sgpr_count 6
		.amdhsa_user_sgpr_private_segment_buffer 1
		.amdhsa_user_sgpr_dispatch_ptr 0
		.amdhsa_user_sgpr_queue_ptr 0
		.amdhsa_user_sgpr_kernarg_segment_ptr 1
		.amdhsa_user_sgpr_dispatch_id 0
		.amdhsa_user_sgpr_flat_scratch_init 0
		.amdhsa_user_sgpr_kernarg_preload_length 0
		.amdhsa_user_sgpr_kernarg_preload_offset 0
		.amdhsa_user_sgpr_private_segment_size 0
		.amdhsa_uses_dynamic_stack 0
		.amdhsa_system_sgpr_private_segment_wavefront_offset 0
		.amdhsa_system_sgpr_workgroup_id_x 1
		.amdhsa_system_sgpr_workgroup_id_y 1
		.amdhsa_system_sgpr_workgroup_id_z 1
		.amdhsa_system_sgpr_workgroup_info 0
		.amdhsa_system_vgpr_workitem_id 1
		.amdhsa_next_free_vgpr 48
		.amdhsa_next_free_sgpr 44
		.amdhsa_accum_offset 48
		.amdhsa_reserve_vcc 1
		.amdhsa_reserve_flat_scratch 0
		.amdhsa_float_round_mode_32 0
		.amdhsa_float_round_mode_16_64 0
		.amdhsa_float_denorm_mode_32 3
		.amdhsa_float_denorm_mode_16_64 3
		.amdhsa_dx10_clamp 1
		.amdhsa_ieee_mode 1
		.amdhsa_fp16_overflow 0
		.amdhsa_tg_split 0
		.amdhsa_exception_fp_ieee_invalid_op 0
		.amdhsa_exception_fp_denorm_src 0
		.amdhsa_exception_fp_ieee_div_zero 0
		.amdhsa_exception_fp_ieee_overflow 0
		.amdhsa_exception_fp_ieee_underflow 0
		.amdhsa_exception_fp_ieee_inexact 0
		.amdhsa_exception_int_div_zero 0
	.end_amdhsa_kernel
	.section	.text._ZL24rocblas_symm_hemm_kernelILb1ELb1ELi32E19rocblas_complex_numIdEPKS1_PS1_EvbiiT2_T3_lllS6_lllT4_llli,"axG",@progbits,_ZL24rocblas_symm_hemm_kernelILb1ELb1ELi32E19rocblas_complex_numIdEPKS1_PS1_EvbiiT2_T3_lllS6_lllT4_llli,comdat
.Lfunc_end31:
	.size	_ZL24rocblas_symm_hemm_kernelILb1ELb1ELi32E19rocblas_complex_numIdEPKS1_PS1_EvbiiT2_T3_lllS6_lllT4_llli, .Lfunc_end31-_ZL24rocblas_symm_hemm_kernelILb1ELb1ELi32E19rocblas_complex_numIdEPKS1_PS1_EvbiiT2_T3_lllS6_lllT4_llli
                                        ; -- End function
	.section	.AMDGPU.csdata,"",@progbits
; Kernel info:
; codeLenInByte = 3084
; NumSgprs: 48
; NumVgprs: 48
; NumAgprs: 0
; TotalNumVgprs: 48
; ScratchSize: 0
; MemoryBound: 1
; FloatMode: 240
; IeeeMode: 1
; LDSByteSize: 32768 bytes/workgroup (compile time only)
; SGPRBlocks: 5
; VGPRBlocks: 5
; NumSGPRsForWavesPerEU: 48
; NumVGPRsForWavesPerEU: 48
; AccumOffset: 48
; Occupancy: 8
; WaveLimiterHint : 0
; COMPUTE_PGM_RSRC2:SCRATCH_EN: 0
; COMPUTE_PGM_RSRC2:USER_SGPR: 6
; COMPUTE_PGM_RSRC2:TRAP_HANDLER: 0
; COMPUTE_PGM_RSRC2:TGID_X_EN: 1
; COMPUTE_PGM_RSRC2:TGID_Y_EN: 1
; COMPUTE_PGM_RSRC2:TGID_Z_EN: 1
; COMPUTE_PGM_RSRC2:TIDIG_COMP_CNT: 1
; COMPUTE_PGM_RSRC3_GFX90A:ACCUM_OFFSET: 11
; COMPUTE_PGM_RSRC3_GFX90A:TG_SPLIT: 0
	.section	.text._ZL25rocblas_symm_scale_kernelILi128ELi8EPKfPKPfEviiT1_T2_llli,"axG",@progbits,_ZL25rocblas_symm_scale_kernelILi128ELi8EPKfPKPfEviiT1_T2_llli,comdat
	.globl	_ZL25rocblas_symm_scale_kernelILi128ELi8EPKfPKPfEviiT1_T2_llli ; -- Begin function _ZL25rocblas_symm_scale_kernelILi128ELi8EPKfPKPfEviiT1_T2_llli
	.p2align	8
	.type	_ZL25rocblas_symm_scale_kernelILi128ELi8EPKfPKPfEviiT1_T2_llli,@function
_ZL25rocblas_symm_scale_kernelILi128ELi8EPKfPKPfEviiT1_T2_llli: ; @_ZL25rocblas_symm_scale_kernelILi128ELi8EPKfPKPfEviiT1_T2_llli
; %bb.0:
	s_load_dwordx8 s[12:19], s[4:5], 0x8
	s_waitcnt lgkmcnt(0)
	s_load_dword s10, s[12:13], 0x0
	s_waitcnt lgkmcnt(0)
	v_cmp_eq_f32_e64 s[0:1], s10, 1.0
	s_and_b64 vcc, exec, s[0:1]
	s_cbranch_vccnz .LBB32_7
; %bb.1:
	s_load_dwordx2 s[0:1], s[4:5], 0x0
	v_and_b32_e32 v1, 0x3ff, v0
	v_bfe_u32 v0, v0, 10, 10
	v_lshl_add_u32 v2, s6, 7, v1
	v_lshl_add_u32 v0, s7, 3, v0
	v_mov_b32_e32 v1, 0
	s_waitcnt lgkmcnt(0)
	s_ashr_i32 s3, s1, 31
	s_mov_b32 s2, s1
	v_cmp_gt_u32_e32 vcc, s0, v2
	v_cmp_gt_i64_e64 s[0:1], s[2:3], v[0:1]
	s_and_b64 s[0:1], vcc, s[0:1]
	s_and_saveexec_b64 s[6:7], s[0:1]
	s_cbranch_execz .LBB32_7
; %bb.2:
	s_load_dword s4, s[4:5], 0x3c
	s_mov_b32 s9, 0
	s_lshl_b64 s[0:1], s[8:9], 3
	s_add_u32 s0, s14, s0
	s_addc_u32 s1, s15, s1
	s_waitcnt lgkmcnt(0)
	s_lshl_b32 s8, s4, 3
	v_mad_u64_u32 v[4:5], s[4:5], s18, v0, 0
	v_mov_b32_e32 v6, v5
	v_mad_u64_u32 v[6:7], s[4:5], s19, v0, v[6:7]
	v_mov_b32_e32 v5, v6
	s_load_dwordx2 s[0:1], s[0:1], 0x0
	v_lshlrev_b64 v[4:5], 2, v[4:5]
	s_lshl_b64 s[4:5], s[16:17], 2
	v_mov_b32_e32 v3, v1
	v_mov_b32_e32 v6, s5
	v_add_co_u32_e32 v4, vcc, s4, v4
	v_addc_co_u32_e32 v5, vcc, v5, v6, vcc
	v_lshlrev_b64 v[2:3], 2, v[2:3]
	v_add_co_u32_e32 v2, vcc, v4, v2
	v_addc_co_u32_e32 v3, vcc, v5, v3, vcc
	s_waitcnt lgkmcnt(0)
	v_mov_b32_e32 v4, s1
	v_add_co_u32_e32 v2, vcc, s0, v2
	s_mul_i32 s0, s19, s8
	s_mul_hi_u32 s1, s18, s8
	s_add_i32 s1, s1, s0
	s_mul_i32 s0, s18, s8
	s_lshl_b64 s[4:5], s[0:1], 2
	v_cmp_neq_f32_e64 s[0:1], s10, 0
	v_addc_co_u32_e32 v3, vcc, v4, v3, vcc
	v_cndmask_b32_e64 v4, 0, 1, s[0:1]
	s_mov_b64 s[6:7], 0
	v_cmp_ne_u32_e64 s[0:1], 1, v4
	v_mov_b32_e32 v4, s9
	v_mov_b32_e32 v5, s5
	s_branch .LBB32_5
.LBB32_3:                               ;   in Loop: Header=BB32_5 Depth=1
	global_load_dword v6, v[2:3], off
	s_waitcnt vmcnt(0)
	v_mul_f32_e32 v6, s10, v6
.LBB32_4:                               ;   in Loop: Header=BB32_5 Depth=1
	v_add_co_u32_e32 v0, vcc, s8, v0
	v_addc_co_u32_e32 v1, vcc, v1, v4, vcc
	v_cmp_le_i64_e32 vcc, s[2:3], v[0:1]
	global_store_dword v[2:3], v6, off
	s_or_b64 s[6:7], vcc, s[6:7]
	v_add_co_u32_e32 v2, vcc, s4, v2
	v_addc_co_u32_e32 v3, vcc, v3, v5, vcc
	s_andn2_b64 exec, exec, s[6:7]
	s_cbranch_execz .LBB32_7
.LBB32_5:                               ; =>This Inner Loop Header: Depth=1
	s_and_b64 vcc, exec, s[0:1]
	s_cbranch_vccz .LBB32_3
; %bb.6:                                ;   in Loop: Header=BB32_5 Depth=1
	v_mov_b32_e32 v6, 0
	s_branch .LBB32_4
.LBB32_7:
	s_endpgm
	.section	.rodata,"a",@progbits
	.p2align	6, 0x0
	.amdhsa_kernel _ZL25rocblas_symm_scale_kernelILi128ELi8EPKfPKPfEviiT1_T2_llli
		.amdhsa_group_segment_fixed_size 0
		.amdhsa_private_segment_fixed_size 0
		.amdhsa_kernarg_size 312
		.amdhsa_user_sgpr_count 6
		.amdhsa_user_sgpr_private_segment_buffer 1
		.amdhsa_user_sgpr_dispatch_ptr 0
		.amdhsa_user_sgpr_queue_ptr 0
		.amdhsa_user_sgpr_kernarg_segment_ptr 1
		.amdhsa_user_sgpr_dispatch_id 0
		.amdhsa_user_sgpr_flat_scratch_init 0
		.amdhsa_user_sgpr_kernarg_preload_length 0
		.amdhsa_user_sgpr_kernarg_preload_offset 0
		.amdhsa_user_sgpr_private_segment_size 0
		.amdhsa_uses_dynamic_stack 0
		.amdhsa_system_sgpr_private_segment_wavefront_offset 0
		.amdhsa_system_sgpr_workgroup_id_x 1
		.amdhsa_system_sgpr_workgroup_id_y 1
		.amdhsa_system_sgpr_workgroup_id_z 1
		.amdhsa_system_sgpr_workgroup_info 0
		.amdhsa_system_vgpr_workitem_id 1
		.amdhsa_next_free_vgpr 8
		.amdhsa_next_free_sgpr 20
		.amdhsa_accum_offset 8
		.amdhsa_reserve_vcc 1
		.amdhsa_reserve_flat_scratch 0
		.amdhsa_float_round_mode_32 0
		.amdhsa_float_round_mode_16_64 0
		.amdhsa_float_denorm_mode_32 3
		.amdhsa_float_denorm_mode_16_64 3
		.amdhsa_dx10_clamp 1
		.amdhsa_ieee_mode 1
		.amdhsa_fp16_overflow 0
		.amdhsa_tg_split 0
		.amdhsa_exception_fp_ieee_invalid_op 0
		.amdhsa_exception_fp_denorm_src 0
		.amdhsa_exception_fp_ieee_div_zero 0
		.amdhsa_exception_fp_ieee_overflow 0
		.amdhsa_exception_fp_ieee_underflow 0
		.amdhsa_exception_fp_ieee_inexact 0
		.amdhsa_exception_int_div_zero 0
	.end_amdhsa_kernel
	.section	.text._ZL25rocblas_symm_scale_kernelILi128ELi8EPKfPKPfEviiT1_T2_llli,"axG",@progbits,_ZL25rocblas_symm_scale_kernelILi128ELi8EPKfPKPfEviiT1_T2_llli,comdat
.Lfunc_end32:
	.size	_ZL25rocblas_symm_scale_kernelILi128ELi8EPKfPKPfEviiT1_T2_llli, .Lfunc_end32-_ZL25rocblas_symm_scale_kernelILi128ELi8EPKfPKPfEviiT1_T2_llli
                                        ; -- End function
	.section	.AMDGPU.csdata,"",@progbits
; Kernel info:
; codeLenInByte = 380
; NumSgprs: 24
; NumVgprs: 8
; NumAgprs: 0
; TotalNumVgprs: 8
; ScratchSize: 0
; MemoryBound: 0
; FloatMode: 240
; IeeeMode: 1
; LDSByteSize: 0 bytes/workgroup (compile time only)
; SGPRBlocks: 2
; VGPRBlocks: 0
; NumSGPRsForWavesPerEU: 24
; NumVGPRsForWavesPerEU: 8
; AccumOffset: 8
; Occupancy: 8
; WaveLimiterHint : 0
; COMPUTE_PGM_RSRC2:SCRATCH_EN: 0
; COMPUTE_PGM_RSRC2:USER_SGPR: 6
; COMPUTE_PGM_RSRC2:TRAP_HANDLER: 0
; COMPUTE_PGM_RSRC2:TGID_X_EN: 1
; COMPUTE_PGM_RSRC2:TGID_Y_EN: 1
; COMPUTE_PGM_RSRC2:TGID_Z_EN: 1
; COMPUTE_PGM_RSRC2:TIDIG_COMP_CNT: 1
; COMPUTE_PGM_RSRC3_GFX90A:ACCUM_OFFSET: 1
; COMPUTE_PGM_RSRC3_GFX90A:TG_SPLIT: 0
	.section	.text._ZL24rocblas_symm_hemm_kernelILb0ELb0ELi32EPKfPKS1_PKPfEvbiiT2_T3_lllS8_lllT4_llli,"axG",@progbits,_ZL24rocblas_symm_hemm_kernelILb0ELb0ELi32EPKfPKS1_PKPfEvbiiT2_T3_lllS8_lllT4_llli,comdat
	.globl	_ZL24rocblas_symm_hemm_kernelILb0ELb0ELi32EPKfPKS1_PKPfEvbiiT2_T3_lllS8_lllT4_llli ; -- Begin function _ZL24rocblas_symm_hemm_kernelILb0ELb0ELi32EPKfPKS1_PKPfEvbiiT2_T3_lllS8_lllT4_llli
	.p2align	8
	.type	_ZL24rocblas_symm_hemm_kernelILb0ELb0ELi32EPKfPKS1_PKPfEvbiiT2_T3_lllS8_lllT4_llli,@function
_ZL24rocblas_symm_hemm_kernelILb0ELb0ELi32EPKfPKS1_PKPfEvbiiT2_T3_lllS8_lllT4_llli: ; @_ZL24rocblas_symm_hemm_kernelILb0ELb0ELi32EPKfPKS1_PKPfEvbiiT2_T3_lllS8_lllT4_llli
; %bb.0:
	s_load_dwordx8 s[12:19], s[4:5], 0x10
	s_waitcnt lgkmcnt(0)
	s_load_dword s24, s[12:13], 0x0
	s_waitcnt lgkmcnt(0)
	v_cmp_eq_f32_e64 s[0:1], s24, 0
	s_and_b64 vcc, exec, s[0:1]
	s_cbranch_vccnz .LBB33_13
; %bb.1:
	s_load_dwordx4 s[20:23], s[4:5], 0x0
	s_waitcnt lgkmcnt(0)
	s_add_i32 s0, s22, -1
	s_ashr_i32 s1, s0, 31
	s_lshr_b32 s1, s1, 27
	s_add_i32 s0, s0, s1
	s_ashr_i32 s23, s0, 5
	s_cmp_gt_i32 s7, s23
	s_cbranch_scc1 .LBB33_13
; %bb.2:
	s_mov_b32 s9, 0
	s_lshl_b64 s[8:9], s[8:9], 3
	s_add_u32 s12, s14, s8
	s_addc_u32 s13, s15, s9
	s_load_dwordx2 s[14:15], s[12:13], 0x0
	s_load_dwordx4 s[0:3], s[4:5], 0x38
	s_load_dwordx2 s[10:11], s[4:5], 0x48
	s_lshl_b64 s[12:13], s[16:17], 2
	v_and_b32_e32 v6, 0x3ff, v0
	s_waitcnt lgkmcnt(0)
	s_add_u32 s25, s14, s12
	s_addc_u32 s26, s15, s13
	s_add_u32 s0, s0, s8
	s_addc_u32 s1, s1, s9
	s_load_dwordx2 s[14:15], s[0:1], 0x0
	s_load_dwordx4 s[36:39], s[4:5], 0x58
	s_load_dwordx2 s[12:13], s[4:5], 0x68
	s_lshl_b64 s[0:1], s[2:3], 2
	v_bfe_u32 v7, v0, 10, 10
	s_waitcnt lgkmcnt(0)
	s_add_u32 s27, s14, s0
	s_addc_u32 s28, s15, s1
	s_add_u32 s0, s36, s8
	s_addc_u32 s1, s37, s9
	s_load_dwordx2 s[2:3], s[0:1], 0x0
	v_lshl_add_u32 v0, s6, 5, v6
	s_bitcmp1_b32 s20, 0
	v_lshlrev_b32_e32 v1, 2, v7
	v_lshlrev_b32_e32 v8, 7, v6
	s_cselect_b64 s[0:1], -1, 0
	s_lshl_b64 s[8:9], s[38:39], 2
	v_add_u32_e32 v9, v8, v1
	v_or_b32_e32 v10, 0x1000, v1
	v_ashrrev_i32_e32 v1, 31, v0
	s_waitcnt lgkmcnt(0)
	s_add_u32 s6, s2, s8
	v_lshlrev_b64 v[2:3], 2, v[0:1]
	s_addc_u32 s8, s3, s9
	v_add_co_u32_e32 v1, vcc, s6, v2
	s_load_dword s6, s[4:5], 0x84
	s_cmp_gt_i32 s21, 0
	s_cselect_b64 s[4:5], -1, 0
	v_mov_b32_e32 v4, s8
	v_cndmask_b32_e64 v2, 0, 1, s[4:5]
	v_add_u32_e32 v11, v10, v8
	v_cmp_gt_i32_e64 s[2:3], s21, v0
	v_addc_co_u32_e32 v12, vcc, v4, v3, vcc
	v_cmp_ne_u32_e64 s[4:5], 1, v2
	v_add_u32_e32 v13, 0x400, v10
	v_add_u32_e32 v14, 0x800, v10
	;; [unrolled: 1-line block ×3, first 2 shown]
	s_branch .LBB33_4
.LBB33_3:                               ;   in Loop: Header=BB33_4 Depth=1
	s_waitcnt lgkmcnt(0)
	s_add_i32 s7, s7, s6
	s_cmp_gt_i32 s7, s23
	s_cbranch_scc1 .LBB33_13
.LBB33_4:                               ; =>This Loop Header: Depth=1
                                        ;     Child Loop BB33_7 Depth 2
	s_and_b64 vcc, exec, s[4:5]
	s_cbranch_vccnz .LBB33_3
; %bb.5:                                ;   in Loop: Header=BB33_4 Depth=1
	v_lshl_add_u32 v4, s7, 5, v7
	v_ashrrev_i32_e32 v5, 31, v4
	v_mul_lo_u32 v16, v5, s10
	v_mul_lo_u32 v17, v4, s11
	v_mad_u64_u32 v[2:3], s[8:9], v4, s10, 0
	v_add3_u32 v3, v3, v17, v16
	v_lshlrev_b64 v[2:3], 2, v[2:3]
	v_mov_b32_e32 v17, s28
	v_add_co_u32_e64 v16, s[8:9], s27, v2
	v_addc_co_u32_e64 v17, s[8:9], v17, v3, s[8:9]
	v_mul_lo_u32 v5, v5, s12
	v_mul_lo_u32 v18, v4, s13
	v_mad_u64_u32 v[2:3], s[8:9], v4, s12, 0
	v_add3_u32 v3, v3, v18, v5
	v_lshlrev_b64 v[2:3], 2, v[2:3]
	v_cmp_gt_i32_e32 vcc, s22, v4
	v_add_co_u32_e64 v2, s[8:9], v1, v2
	s_and_b64 s[14:15], s[2:3], vcc
	v_addc_co_u32_e64 v3, s[8:9], v12, v3, s[8:9]
	s_mov_b32 s20, 0
	s_branch .LBB33_7
.LBB33_6:                               ;   in Loop: Header=BB33_7 Depth=2
	s_or_b64 exec, exec, s[8:9]
	s_add_i32 s20, s20, 32
	s_cmp_ge_i32 s20, s21
	s_barrier
	s_cbranch_scc1 .LBB33_3
.LBB33_7:                               ;   Parent Loop BB33_4 Depth=1
                                        ; =>  This Inner Loop Header: Depth=2
	v_add_u32_e32 v5, s20, v7
	v_cndmask_b32_e64 v4, v5, v0, s[0:1]
	v_cndmask_b32_e64 v18, v0, v5, s[0:1]
	v_cmp_gt_i32_e64 s[8:9], v4, v18
	v_cndmask_b32_e64 v4, v0, v5, s[8:9]
	v_cndmask_b32_e64 v5, v5, v0, s[8:9]
	v_max_i32_e32 v18, v4, v5
	v_cmp_gt_i32_e64 s[8:9], s21, v18
	v_mov_b32_e32 v18, 0
	v_mov_b32_e32 v19, 0
	s_and_saveexec_b64 s[16:17], s[8:9]
	s_cbranch_execz .LBB33_9
; %bb.8:                                ;   in Loop: Header=BB33_7 Depth=2
	v_ashrrev_i32_e32 v19, 31, v5
	v_mul_lo_u32 v22, v5, s19
	v_mul_lo_u32 v19, v19, s18
	v_mad_u64_u32 v[20:21], s[8:9], v5, s18, 0
	v_add3_u32 v21, v21, v22, v19
	v_lshlrev_b64 v[20:21], 2, v[20:21]
	v_ashrrev_i32_e32 v5, 31, v4
	v_mov_b32_e32 v19, s26
	v_add_co_u32_e64 v20, s[8:9], s25, v20
	v_addc_co_u32_e64 v19, s[8:9], v19, v21, s[8:9]
	v_lshlrev_b64 v[4:5], 2, v[4:5]
	v_add_co_u32_e64 v4, s[8:9], v20, v4
	v_addc_co_u32_e64 v5, s[8:9], v19, v5, s[8:9]
	global_load_dword v19, v[4:5], off
.LBB33_9:                               ;   in Loop: Header=BB33_7 Depth=2
	s_or_b64 exec, exec, s[16:17]
	v_add_u32_e32 v4, s20, v6
	v_cmp_gt_i32_e64 s[8:9], s21, v4
	s_and_b64 s[8:9], s[8:9], vcc
	s_waitcnt vmcnt(0)
	ds_write_b32 v9, v19
	s_and_saveexec_b64 s[16:17], s[8:9]
	s_cbranch_execz .LBB33_11
; %bb.10:                               ;   in Loop: Header=BB33_7 Depth=2
	v_ashrrev_i32_e32 v5, 31, v4
	v_lshlrev_b64 v[4:5], 2, v[4:5]
	v_add_co_u32_e64 v4, s[8:9], v16, v4
	v_addc_co_u32_e64 v5, s[8:9], v17, v5, s[8:9]
	global_load_dword v18, v[4:5], off
.LBB33_11:                              ;   in Loop: Header=BB33_7 Depth=2
	s_or_b64 exec, exec, s[16:17]
	s_waitcnt vmcnt(0)
	ds_write_b32 v11, v18
	s_waitcnt lgkmcnt(0)
	s_barrier
	s_and_saveexec_b64 s[8:9], s[14:15]
	s_cbranch_execz .LBB33_6
; %bb.12:                               ;   in Loop: Header=BB33_7 Depth=2
	global_load_dword v38, v[2:3], off
	ds_read2_b32 v[4:5], v10 offset1:32
	ds_read_b128 v[18:21], v8
	ds_read_b128 v[22:25], v8 offset:16
	ds_read2_b32 v[34:35], v10 offset0:64 offset1:96
	ds_read_b128 v[26:29], v8 offset:32
	ds_read_b128 v[30:33], v8 offset:48
	ds_read2_b32 v[36:37], v10 offset0:128 offset1:160
	s_waitcnt lgkmcnt(5)
	v_fma_f32 v39, v18, v4, 0
	v_fmac_f32_e32 v39, v19, v5
	ds_read2_b32 v[4:5], v10 offset0:192 offset1:224
	s_waitcnt lgkmcnt(4)
	v_fmac_f32_e32 v39, v20, v34
	v_fmac_f32_e32 v39, v21, v35
	ds_read2_b32 v[18:19], v13 offset1:32
	s_waitcnt lgkmcnt(2)
	v_fmac_f32_e32 v39, v22, v36
	v_fmac_f32_e32 v39, v23, v37
	ds_read2_b32 v[20:21], v13 offset0:64 offset1:96
	s_waitcnt lgkmcnt(2)
	v_fmac_f32_e32 v39, v24, v4
	v_fmac_f32_e32 v39, v25, v5
	ds_read2_b32 v[4:5], v13 offset0:128 offset1:160
	s_waitcnt lgkmcnt(2)
	v_fmac_f32_e32 v39, v26, v18
	v_fmac_f32_e32 v39, v27, v19
	s_waitcnt lgkmcnt(1)
	v_fmac_f32_e32 v39, v28, v20
	ds_read2_b32 v[22:23], v13 offset0:192 offset1:224
	v_fmac_f32_e32 v39, v29, v21
	s_waitcnt lgkmcnt(1)
	v_fmac_f32_e32 v39, v30, v4
	v_fmac_f32_e32 v39, v31, v5
	ds_read2_b32 v[4:5], v14 offset1:32
	ds_read_b128 v[18:21], v8 offset:64
	s_waitcnt lgkmcnt(2)
	v_fmac_f32_e32 v39, v32, v22
	v_fmac_f32_e32 v39, v33, v23
	ds_read2_b32 v[26:27], v14 offset0:64 offset1:96
	ds_read_b128 v[22:25], v8 offset:80
	ds_read2_b32 v[28:29], v14 offset0:128 offset1:160
	s_waitcnt lgkmcnt(3)
	v_fmac_f32_e32 v39, v18, v4
	v_fmac_f32_e32 v39, v19, v5
	ds_read2_b32 v[4:5], v14 offset0:192 offset1:224
	s_waitcnt lgkmcnt(3)
	v_fmac_f32_e32 v39, v20, v26
	v_fmac_f32_e32 v39, v21, v27
	ds_read2_b32 v[26:27], v15 offset1:32
	ds_read_b128 v[18:21], v8 offset:96
	s_waitcnt lgkmcnt(3)
	v_fmac_f32_e32 v39, v22, v28
	v_fmac_f32_e32 v39, v23, v29
	s_waitcnt lgkmcnt(2)
	v_pk_mul_f32 v[4:5], v[24:25], v[4:5]
	v_add_f32_e32 v4, v39, v4
	v_add_f32_e32 v28, v4, v5
	ds_read2_b32 v[4:5], v15 offset0:64 offset1:96
	ds_read_b128 v[22:25], v8 offset:112
	s_waitcnt lgkmcnt(2)
	v_pk_mul_f32 v[18:19], v[18:19], v[26:27]
	v_add_f32_e32 v18, v28, v18
	v_add_f32_e32 v26, v18, v19
	ds_read2_b32 v[18:19], v15 offset0:128 offset1:160
	s_waitcnt lgkmcnt(2)
	v_pk_mul_f32 v[4:5], v[20:21], v[4:5]
	ds_read2_b32 v[20:21], v15 offset0:192 offset1:224
	v_add_f32_e32 v4, v26, v4
	v_add_f32_e32 v26, v4, v5
	s_waitcnt lgkmcnt(1)
	v_pk_mul_f32 v[4:5], v[22:23], v[18:19]
	v_add_f32_e32 v4, v26, v4
	v_add_f32_e32 v18, v4, v5
	s_waitcnt lgkmcnt(0)
	v_pk_mul_f32 v[4:5], v[24:25], v[20:21]
	v_add_f32_e32 v4, v18, v4
	v_add_f32_e32 v4, v4, v5
	s_waitcnt vmcnt(0)
	v_fmac_f32_e32 v38, s24, v4
	global_store_dword v[2:3], v38, off
	s_branch .LBB33_6
.LBB33_13:
	s_endpgm
	.section	.rodata,"a",@progbits
	.p2align	6, 0x0
	.amdhsa_kernel _ZL24rocblas_symm_hemm_kernelILb0ELb0ELi32EPKfPKS1_PKPfEvbiiT2_T3_lllS8_lllT4_llli
		.amdhsa_group_segment_fixed_size 8192
		.amdhsa_private_segment_fixed_size 0
		.amdhsa_kernarg_size 384
		.amdhsa_user_sgpr_count 6
		.amdhsa_user_sgpr_private_segment_buffer 1
		.amdhsa_user_sgpr_dispatch_ptr 0
		.amdhsa_user_sgpr_queue_ptr 0
		.amdhsa_user_sgpr_kernarg_segment_ptr 1
		.amdhsa_user_sgpr_dispatch_id 0
		.amdhsa_user_sgpr_flat_scratch_init 0
		.amdhsa_user_sgpr_kernarg_preload_length 0
		.amdhsa_user_sgpr_kernarg_preload_offset 0
		.amdhsa_user_sgpr_private_segment_size 0
		.amdhsa_uses_dynamic_stack 0
		.amdhsa_system_sgpr_private_segment_wavefront_offset 0
		.amdhsa_system_sgpr_workgroup_id_x 1
		.amdhsa_system_sgpr_workgroup_id_y 1
		.amdhsa_system_sgpr_workgroup_id_z 1
		.amdhsa_system_sgpr_workgroup_info 0
		.amdhsa_system_vgpr_workitem_id 1
		.amdhsa_next_free_vgpr 40
		.amdhsa_next_free_sgpr 40
		.amdhsa_accum_offset 40
		.amdhsa_reserve_vcc 1
		.amdhsa_reserve_flat_scratch 0
		.amdhsa_float_round_mode_32 0
		.amdhsa_float_round_mode_16_64 0
		.amdhsa_float_denorm_mode_32 3
		.amdhsa_float_denorm_mode_16_64 3
		.amdhsa_dx10_clamp 1
		.amdhsa_ieee_mode 1
		.amdhsa_fp16_overflow 0
		.amdhsa_tg_split 0
		.amdhsa_exception_fp_ieee_invalid_op 0
		.amdhsa_exception_fp_denorm_src 0
		.amdhsa_exception_fp_ieee_div_zero 0
		.amdhsa_exception_fp_ieee_overflow 0
		.amdhsa_exception_fp_ieee_underflow 0
		.amdhsa_exception_fp_ieee_inexact 0
		.amdhsa_exception_int_div_zero 0
	.end_amdhsa_kernel
	.section	.text._ZL24rocblas_symm_hemm_kernelILb0ELb0ELi32EPKfPKS1_PKPfEvbiiT2_T3_lllS8_lllT4_llli,"axG",@progbits,_ZL24rocblas_symm_hemm_kernelILb0ELb0ELi32EPKfPKS1_PKPfEvbiiT2_T3_lllS8_lllT4_llli,comdat
.Lfunc_end33:
	.size	_ZL24rocblas_symm_hemm_kernelILb0ELb0ELi32EPKfPKS1_PKPfEvbiiT2_T3_lllS8_lllT4_llli, .Lfunc_end33-_ZL24rocblas_symm_hemm_kernelILb0ELb0ELi32EPKfPKS1_PKPfEvbiiT2_T3_lllS8_lllT4_llli
                                        ; -- End function
	.section	.AMDGPU.csdata,"",@progbits
; Kernel info:
; codeLenInByte = 1292
; NumSgprs: 44
; NumVgprs: 40
; NumAgprs: 0
; TotalNumVgprs: 40
; ScratchSize: 0
; MemoryBound: 0
; FloatMode: 240
; IeeeMode: 1
; LDSByteSize: 8192 bytes/workgroup (compile time only)
; SGPRBlocks: 5
; VGPRBlocks: 4
; NumSGPRsForWavesPerEU: 44
; NumVGPRsForWavesPerEU: 40
; AccumOffset: 40
; Occupancy: 8
; WaveLimiterHint : 1
; COMPUTE_PGM_RSRC2:SCRATCH_EN: 0
; COMPUTE_PGM_RSRC2:USER_SGPR: 6
; COMPUTE_PGM_RSRC2:TRAP_HANDLER: 0
; COMPUTE_PGM_RSRC2:TGID_X_EN: 1
; COMPUTE_PGM_RSRC2:TGID_Y_EN: 1
; COMPUTE_PGM_RSRC2:TGID_Z_EN: 1
; COMPUTE_PGM_RSRC2:TIDIG_COMP_CNT: 1
; COMPUTE_PGM_RSRC3_GFX90A:ACCUM_OFFSET: 9
; COMPUTE_PGM_RSRC3_GFX90A:TG_SPLIT: 0
	.section	.text._ZL24rocblas_symm_hemm_kernelILb0ELb1ELi32EPKfPKS1_PKPfEvbiiT2_T3_lllS8_lllT4_llli,"axG",@progbits,_ZL24rocblas_symm_hemm_kernelILb0ELb1ELi32EPKfPKS1_PKPfEvbiiT2_T3_lllS8_lllT4_llli,comdat
	.globl	_ZL24rocblas_symm_hemm_kernelILb0ELb1ELi32EPKfPKS1_PKPfEvbiiT2_T3_lllS8_lllT4_llli ; -- Begin function _ZL24rocblas_symm_hemm_kernelILb0ELb1ELi32EPKfPKS1_PKPfEvbiiT2_T3_lllS8_lllT4_llli
	.p2align	8
	.type	_ZL24rocblas_symm_hemm_kernelILb0ELb1ELi32EPKfPKS1_PKPfEvbiiT2_T3_lllS8_lllT4_llli,@function
_ZL24rocblas_symm_hemm_kernelILb0ELb1ELi32EPKfPKS1_PKPfEvbiiT2_T3_lllS8_lllT4_llli: ; @_ZL24rocblas_symm_hemm_kernelILb0ELb1ELi32EPKfPKS1_PKPfEvbiiT2_T3_lllS8_lllT4_llli
; %bb.0:
	s_load_dwordx8 s[12:19], s[4:5], 0x10
	s_waitcnt lgkmcnt(0)
	s_load_dword s24, s[12:13], 0x0
	s_waitcnt lgkmcnt(0)
	v_cmp_eq_f32_e64 s[0:1], s24, 0
	s_and_b64 vcc, exec, s[0:1]
	s_cbranch_vccnz .LBB34_13
; %bb.1:
	s_load_dwordx4 s[20:23], s[4:5], 0x0
	s_waitcnt lgkmcnt(0)
	s_add_i32 s0, s22, -1
	s_ashr_i32 s1, s0, 31
	s_lshr_b32 s1, s1, 27
	s_add_i32 s0, s0, s1
	s_ashr_i32 s23, s0, 5
	s_cmp_gt_i32 s7, s23
	s_cbranch_scc1 .LBB34_13
; %bb.2:
	s_mov_b32 s9, 0
	s_lshl_b64 s[26:27], s[8:9], 3
	s_add_u32 s28, s14, s26
	s_addc_u32 s29, s15, s27
	s_load_dwordx2 s[30:31], s[28:29], 0x0
	s_load_dwordx4 s[0:3], s[4:5], 0x38
	s_load_dwordx2 s[8:9], s[4:5], 0x48
	s_load_dwordx4 s[12:15], s[4:5], 0x58
	s_load_dwordx2 s[10:11], s[4:5], 0x68
	s_lshl_b64 s[16:17], s[16:17], 2
	s_waitcnt lgkmcnt(0)
	s_add_u32 s16, s30, s16
	s_addc_u32 s17, s31, s17
	s_add_u32 s0, s0, s26
	s_addc_u32 s1, s1, s27
	;; [unrolled: 2-line block ×3, first 2 shown]
	s_load_dwordx2 s[26:27], s[12:13], 0x0
	s_load_dwordx2 s[28:29], s[0:1], 0x0
	s_bitcmp1_b32 s20, 0
	s_cselect_b64 s[0:1], -1, 0
	s_lshl_b64 s[12:13], s[14:15], 2
	s_waitcnt lgkmcnt(0)
	s_add_u32 s12, s26, s12
	v_and_b32_e32 v4, 0x3ff, v0
	s_addc_u32 s13, s27, s13
	s_lshl_b64 s[2:3], s[2:3], 2
	v_lshl_add_u32 v2, s6, 5, v4
	s_add_u32 s14, s28, s2
	v_ashrrev_i32_e32 v3, 31, v2
	s_addc_u32 s15, s29, s3
	v_bfe_u32 v5, v0, 10, 10
	v_lshlrev_b64 v[0:1], 2, v[2:3]
	s_load_dword s6, s[4:5], 0x84
	s_cmp_gt_i32 s22, 0
	v_cmp_gt_i32_e64 s[2:3], s21, v2
	v_mov_b32_e32 v2, s15
	v_add_co_u32_e32 v6, vcc, s14, v0
	v_addc_co_u32_e32 v7, vcc, v2, v1, vcc
	v_lshlrev_b32_e32 v2, 2, v5
	v_lshlrev_b32_e32 v8, 7, v4
	s_cselect_b64 s[4:5], -1, 0
	v_add_u32_e32 v9, v8, v2
	v_or_b32_e32 v10, 0x1000, v2
	v_mov_b32_e32 v2, s13
	v_add_co_u32_e32 v12, vcc, s12, v0
	v_cndmask_b32_e64 v0, 0, 1, s[4:5]
	v_add_u32_e32 v11, v10, v8
	v_addc_co_u32_e32 v13, vcc, v2, v1, vcc
	v_cmp_ne_u32_e64 s[4:5], 1, v0
	v_add_u32_e32 v14, 0x400, v10
	v_add_u32_e32 v15, 0x800, v10
	;; [unrolled: 1-line block ×3, first 2 shown]
	s_branch .LBB34_4
.LBB34_3:                               ;   in Loop: Header=BB34_4 Depth=1
	s_waitcnt lgkmcnt(0)
	s_add_i32 s7, s7, s6
	s_cmp_gt_i32 s7, s23
	s_cbranch_scc1 .LBB34_13
.LBB34_4:                               ; =>This Loop Header: Depth=1
                                        ;     Child Loop BB34_7 Depth 2
	s_and_b64 vcc, exec, s[4:5]
	s_cbranch_vccnz .LBB34_3
; %bb.5:                                ;   in Loop: Header=BB34_4 Depth=1
	v_lshl_add_u32 v17, s7, 5, v5
	v_ashrrev_i32_e32 v0, 31, v17
	v_mul_lo_u32 v2, v0, s10
	v_mul_lo_u32 v3, v17, s11
	v_mad_u64_u32 v[0:1], s[14:15], v17, s10, 0
	v_add3_u32 v1, v1, v3, v2
	v_cmp_gt_i32_e32 vcc, s22, v17
	v_lshlrev_b64 v[0:1], 2, v[0:1]
	s_and_b64 s[12:13], s[2:3], vcc
	v_add_co_u32_e32 v0, vcc, v12, v0
	v_addc_co_u32_e32 v1, vcc, v13, v1, vcc
	s_mov_b32 s20, 0
	s_branch .LBB34_7
.LBB34_6:                               ;   in Loop: Header=BB34_7 Depth=2
	s_or_b64 exec, exec, s[14:15]
	s_add_i32 s20, s20, 32
	s_cmp_ge_i32 s20, s22
	s_barrier
	s_cbranch_scc1 .LBB34_3
.LBB34_7:                               ;   Parent Loop BB34_4 Depth=1
                                        ; =>  This Inner Loop Header: Depth=2
	v_add_u32_e32 v2, s20, v5
	v_cmp_gt_i32_e32 vcc, s22, v2
	s_and_b64 s[26:27], s[2:3], vcc
	v_mov_b32_e32 v3, 0
	v_mov_b32_e32 v18, 0
	s_and_saveexec_b64 s[14:15], s[26:27]
	s_cbranch_execz .LBB34_9
; %bb.8:                                ;   in Loop: Header=BB34_7 Depth=2
	v_ashrrev_i32_e32 v18, 31, v2
	v_mul_lo_u32 v20, v2, s9
	v_mul_lo_u32 v21, v18, s8
	v_mad_u64_u32 v[18:19], s[26:27], v2, s8, 0
	v_add3_u32 v19, v19, v20, v21
	v_lshlrev_b64 v[18:19], 2, v[18:19]
	v_add_co_u32_e32 v18, vcc, v6, v18
	v_addc_co_u32_e32 v19, vcc, v7, v19, vcc
	global_load_dword v18, v[18:19], off
.LBB34_9:                               ;   in Loop: Header=BB34_7 Depth=2
	s_or_b64 exec, exec, s[14:15]
	s_waitcnt vmcnt(0)
	ds_write_b32 v9, v18
	v_add_u32_e32 v18, s20, v4
	v_cndmask_b32_e64 v2, v17, v18, s[0:1]
	v_cndmask_b32_e64 v19, v18, v17, s[0:1]
	v_cmp_gt_i32_e32 vcc, v2, v19
	v_cndmask_b32_e32 v2, v18, v17, vcc
	v_cndmask_b32_e32 v18, v17, v18, vcc
	v_max_i32_e32 v19, v2, v18
	v_cmp_gt_i32_e32 vcc, s22, v19
	s_and_saveexec_b64 s[14:15], vcc
	s_cbranch_execz .LBB34_11
; %bb.10:                               ;   in Loop: Header=BB34_7 Depth=2
	v_ashrrev_i32_e32 v3, 31, v18
	v_mul_lo_u32 v20, v18, s19
	v_mul_lo_u32 v3, v3, s18
	v_mad_u64_u32 v[18:19], s[26:27], v18, s18, 0
	v_add3_u32 v19, v19, v20, v3
	v_lshlrev_b64 v[18:19], 2, v[18:19]
	v_ashrrev_i32_e32 v3, 31, v2
	v_mov_b32_e32 v20, s17
	v_add_co_u32_e32 v18, vcc, s16, v18
	v_addc_co_u32_e32 v19, vcc, v20, v19, vcc
	v_lshlrev_b64 v[2:3], 2, v[2:3]
	v_add_co_u32_e32 v2, vcc, v18, v2
	v_addc_co_u32_e32 v3, vcc, v19, v3, vcc
	global_load_dword v3, v[2:3], off
.LBB34_11:                              ;   in Loop: Header=BB34_7 Depth=2
	s_or_b64 exec, exec, s[14:15]
	s_waitcnt vmcnt(0)
	ds_write_b32 v11, v3
	s_waitcnt lgkmcnt(0)
	s_barrier
	s_and_saveexec_b64 s[14:15], s[12:13]
	s_cbranch_execz .LBB34_6
; %bb.12:                               ;   in Loop: Header=BB34_7 Depth=2
	global_load_dword v38, v[0:1], off
	ds_read2_b32 v[2:3], v10 offset1:32
	ds_read_b128 v[18:21], v8
	ds_read_b128 v[22:25], v8 offset:16
	ds_read2_b32 v[34:35], v10 offset0:64 offset1:96
	ds_read_b128 v[26:29], v8 offset:32
	ds_read_b128 v[30:33], v8 offset:48
	ds_read2_b32 v[36:37], v10 offset0:128 offset1:160
	s_waitcnt lgkmcnt(5)
	v_fma_f32 v39, v18, v2, 0
	v_fmac_f32_e32 v39, v19, v3
	ds_read2_b32 v[2:3], v10 offset0:192 offset1:224
	s_waitcnt lgkmcnt(4)
	v_fmac_f32_e32 v39, v20, v34
	v_fmac_f32_e32 v39, v21, v35
	ds_read2_b32 v[18:19], v14 offset1:32
	s_waitcnt lgkmcnt(2)
	v_fmac_f32_e32 v39, v22, v36
	v_fmac_f32_e32 v39, v23, v37
	ds_read2_b32 v[20:21], v14 offset0:64 offset1:96
	s_waitcnt lgkmcnt(2)
	v_fmac_f32_e32 v39, v24, v2
	v_fmac_f32_e32 v39, v25, v3
	ds_read2_b32 v[2:3], v14 offset0:128 offset1:160
	s_waitcnt lgkmcnt(2)
	v_fmac_f32_e32 v39, v26, v18
	v_fmac_f32_e32 v39, v27, v19
	s_waitcnt lgkmcnt(1)
	v_fmac_f32_e32 v39, v28, v20
	ds_read2_b32 v[22:23], v14 offset0:192 offset1:224
	v_fmac_f32_e32 v39, v29, v21
	s_waitcnt lgkmcnt(1)
	v_fmac_f32_e32 v39, v30, v2
	v_fmac_f32_e32 v39, v31, v3
	ds_read2_b32 v[2:3], v15 offset1:32
	ds_read_b128 v[18:21], v8 offset:64
	s_waitcnt lgkmcnt(2)
	v_fmac_f32_e32 v39, v32, v22
	v_fmac_f32_e32 v39, v33, v23
	ds_read2_b32 v[26:27], v15 offset0:64 offset1:96
	ds_read_b128 v[22:25], v8 offset:80
	ds_read2_b32 v[28:29], v15 offset0:128 offset1:160
	s_waitcnt lgkmcnt(3)
	v_fmac_f32_e32 v39, v18, v2
	v_fmac_f32_e32 v39, v19, v3
	ds_read2_b32 v[2:3], v15 offset0:192 offset1:224
	s_waitcnt lgkmcnt(3)
	v_fmac_f32_e32 v39, v20, v26
	v_fmac_f32_e32 v39, v21, v27
	ds_read2_b32 v[26:27], v16 offset1:32
	ds_read_b128 v[18:21], v8 offset:96
	s_waitcnt lgkmcnt(3)
	v_fmac_f32_e32 v39, v22, v28
	v_fmac_f32_e32 v39, v23, v29
	s_waitcnt lgkmcnt(2)
	v_pk_mul_f32 v[2:3], v[24:25], v[2:3]
	v_add_f32_e32 v2, v39, v2
	v_add_f32_e32 v28, v2, v3
	ds_read2_b32 v[2:3], v16 offset0:64 offset1:96
	ds_read_b128 v[22:25], v8 offset:112
	s_waitcnt lgkmcnt(2)
	v_pk_mul_f32 v[18:19], v[18:19], v[26:27]
	v_add_f32_e32 v18, v28, v18
	v_add_f32_e32 v26, v18, v19
	ds_read2_b32 v[18:19], v16 offset0:128 offset1:160
	s_waitcnt lgkmcnt(2)
	v_pk_mul_f32 v[2:3], v[20:21], v[2:3]
	ds_read2_b32 v[20:21], v16 offset0:192 offset1:224
	v_add_f32_e32 v2, v26, v2
	v_add_f32_e32 v26, v2, v3
	s_waitcnt lgkmcnt(1)
	v_pk_mul_f32 v[2:3], v[22:23], v[18:19]
	v_add_f32_e32 v2, v26, v2
	v_add_f32_e32 v18, v2, v3
	s_waitcnt lgkmcnt(0)
	v_pk_mul_f32 v[2:3], v[24:25], v[20:21]
	v_add_f32_e32 v2, v18, v2
	v_add_f32_e32 v2, v2, v3
	s_waitcnt vmcnt(0)
	v_fmac_f32_e32 v38, s24, v2
	global_store_dword v[0:1], v38, off
	s_branch .LBB34_6
.LBB34_13:
	s_endpgm
	.section	.rodata,"a",@progbits
	.p2align	6, 0x0
	.amdhsa_kernel _ZL24rocblas_symm_hemm_kernelILb0ELb1ELi32EPKfPKS1_PKPfEvbiiT2_T3_lllS8_lllT4_llli
		.amdhsa_group_segment_fixed_size 8192
		.amdhsa_private_segment_fixed_size 0
		.amdhsa_kernarg_size 384
		.amdhsa_user_sgpr_count 6
		.amdhsa_user_sgpr_private_segment_buffer 1
		.amdhsa_user_sgpr_dispatch_ptr 0
		.amdhsa_user_sgpr_queue_ptr 0
		.amdhsa_user_sgpr_kernarg_segment_ptr 1
		.amdhsa_user_sgpr_dispatch_id 0
		.amdhsa_user_sgpr_flat_scratch_init 0
		.amdhsa_user_sgpr_kernarg_preload_length 0
		.amdhsa_user_sgpr_kernarg_preload_offset 0
		.amdhsa_user_sgpr_private_segment_size 0
		.amdhsa_uses_dynamic_stack 0
		.amdhsa_system_sgpr_private_segment_wavefront_offset 0
		.amdhsa_system_sgpr_workgroup_id_x 1
		.amdhsa_system_sgpr_workgroup_id_y 1
		.amdhsa_system_sgpr_workgroup_id_z 1
		.amdhsa_system_sgpr_workgroup_info 0
		.amdhsa_system_vgpr_workitem_id 1
		.amdhsa_next_free_vgpr 40
		.amdhsa_next_free_sgpr 32
		.amdhsa_accum_offset 40
		.amdhsa_reserve_vcc 1
		.amdhsa_reserve_flat_scratch 0
		.amdhsa_float_round_mode_32 0
		.amdhsa_float_round_mode_16_64 0
		.amdhsa_float_denorm_mode_32 3
		.amdhsa_float_denorm_mode_16_64 3
		.amdhsa_dx10_clamp 1
		.amdhsa_ieee_mode 1
		.amdhsa_fp16_overflow 0
		.amdhsa_tg_split 0
		.amdhsa_exception_fp_ieee_invalid_op 0
		.amdhsa_exception_fp_denorm_src 0
		.amdhsa_exception_fp_ieee_div_zero 0
		.amdhsa_exception_fp_ieee_overflow 0
		.amdhsa_exception_fp_ieee_underflow 0
		.amdhsa_exception_fp_ieee_inexact 0
		.amdhsa_exception_int_div_zero 0
	.end_amdhsa_kernel
	.section	.text._ZL24rocblas_symm_hemm_kernelILb0ELb1ELi32EPKfPKS1_PKPfEvbiiT2_T3_lllS8_lllT4_llli,"axG",@progbits,_ZL24rocblas_symm_hemm_kernelILb0ELb1ELi32EPKfPKS1_PKPfEvbiiT2_T3_lllS8_lllT4_llli,comdat
.Lfunc_end34:
	.size	_ZL24rocblas_symm_hemm_kernelILb0ELb1ELi32EPKfPKS1_PKPfEvbiiT2_T3_lllS8_lllT4_llli, .Lfunc_end34-_ZL24rocblas_symm_hemm_kernelILb0ELb1ELi32EPKfPKS1_PKPfEvbiiT2_T3_lllS8_lllT4_llli
                                        ; -- End function
	.section	.AMDGPU.csdata,"",@progbits
; Kernel info:
; codeLenInByte = 1220
; NumSgprs: 36
; NumVgprs: 40
; NumAgprs: 0
; TotalNumVgprs: 40
; ScratchSize: 0
; MemoryBound: 0
; FloatMode: 240
; IeeeMode: 1
; LDSByteSize: 8192 bytes/workgroup (compile time only)
; SGPRBlocks: 4
; VGPRBlocks: 4
; NumSGPRsForWavesPerEU: 36
; NumVGPRsForWavesPerEU: 40
; AccumOffset: 40
; Occupancy: 8
; WaveLimiterHint : 1
; COMPUTE_PGM_RSRC2:SCRATCH_EN: 0
; COMPUTE_PGM_RSRC2:USER_SGPR: 6
; COMPUTE_PGM_RSRC2:TRAP_HANDLER: 0
; COMPUTE_PGM_RSRC2:TGID_X_EN: 1
; COMPUTE_PGM_RSRC2:TGID_Y_EN: 1
; COMPUTE_PGM_RSRC2:TGID_Z_EN: 1
; COMPUTE_PGM_RSRC2:TIDIG_COMP_CNT: 1
; COMPUTE_PGM_RSRC3_GFX90A:ACCUM_OFFSET: 9
; COMPUTE_PGM_RSRC3_GFX90A:TG_SPLIT: 0
	.section	.text._ZL25rocblas_symm_scale_kernelILi128ELi8EfPKPfEviiT1_T2_llli,"axG",@progbits,_ZL25rocblas_symm_scale_kernelILi128ELi8EfPKPfEviiT1_T2_llli,comdat
	.globl	_ZL25rocblas_symm_scale_kernelILi128ELi8EfPKPfEviiT1_T2_llli ; -- Begin function _ZL25rocblas_symm_scale_kernelILi128ELi8EfPKPfEviiT1_T2_llli
	.p2align	8
	.type	_ZL25rocblas_symm_scale_kernelILi128ELi8EfPKPfEviiT1_T2_llli,@function
_ZL25rocblas_symm_scale_kernelILi128ELi8EfPKPfEviiT1_T2_llli: ; @_ZL25rocblas_symm_scale_kernelILi128ELi8EfPKPfEviiT1_T2_llli
; %bb.0:
	s_load_dwordx4 s[0:3], s[4:5], 0x0
	s_waitcnt lgkmcnt(0)
	v_cmp_eq_f32_e64 s[10:11], s2, 1.0
	s_and_b64 vcc, exec, s[10:11]
	s_cbranch_vccnz .LBB35_7
; %bb.1:
	v_and_b32_e32 v1, 0x3ff, v0
	v_bfe_u32 v0, v0, 10, 10
	v_lshl_add_u32 v2, s6, 7, v1
	v_lshl_add_u32 v0, s7, 3, v0
	v_mov_b32_e32 v1, 0
	s_ashr_i32 s7, s1, 31
	s_mov_b32 s6, s1
	v_cmp_gt_u32_e32 vcc, s0, v2
	v_cmp_gt_i64_e64 s[0:1], s[6:7], v[0:1]
	s_and_b64 s[0:1], vcc, s[0:1]
	s_and_saveexec_b64 s[10:11], s[0:1]
	s_cbranch_execz .LBB35_7
; %bb.2:
	s_load_dwordx4 s[12:15], s[4:5], 0x10
	s_load_dwordx2 s[0:1], s[4:5], 0x20
	s_mov_b32 s9, 0
	s_load_dword s3, s[4:5], 0x3c
	s_lshl_b64 s[4:5], s[8:9], 3
	s_waitcnt lgkmcnt(0)
	s_add_u32 s4, s12, s4
	v_mad_u64_u32 v[4:5], s[10:11], s0, v0, 0
	v_mov_b32_e32 v6, v5
	v_mad_u64_u32 v[6:7], s[10:11], s1, v0, v[6:7]
	s_addc_u32 s5, s13, s5
	v_mov_b32_e32 v5, v6
	s_load_dwordx2 s[4:5], s[4:5], 0x0
	v_lshlrev_b64 v[4:5], 2, v[4:5]
	s_lshl_b64 s[10:11], s[14:15], 2
	v_mov_b32_e32 v3, v1
	v_mov_b32_e32 v6, s11
	v_add_co_u32_e32 v4, vcc, s10, v4
	v_addc_co_u32_e32 v5, vcc, v5, v6, vcc
	v_lshlrev_b64 v[2:3], 2, v[2:3]
	v_add_co_u32_e32 v2, vcc, v4, v2
	s_lshl_b32 s3, s3, 3
	v_addc_co_u32_e32 v3, vcc, v5, v3, vcc
	s_waitcnt lgkmcnt(0)
	v_add_co_u32_e32 v2, vcc, s4, v2
	s_mul_i32 s1, s1, s3
	s_mul_hi_u32 s4, s0, s3
	s_add_i32 s1, s4, s1
	s_mul_i32 s0, s0, s3
	v_mov_b32_e32 v4, s5
	s_lshl_b64 s[4:5], s[0:1], 2
	v_cmp_neq_f32_e64 s[0:1], s2, 0
	v_addc_co_u32_e32 v3, vcc, v4, v3, vcc
	v_cndmask_b32_e64 v4, 0, 1, s[0:1]
	s_mov_b64 s[10:11], 0
	v_cmp_ne_u32_e64 s[0:1], 1, v4
	v_mov_b32_e32 v4, s9
	v_mov_b32_e32 v5, s5
	s_branch .LBB35_5
.LBB35_3:                               ;   in Loop: Header=BB35_5 Depth=1
	global_load_dword v6, v[2:3], off
	s_waitcnt vmcnt(0)
	v_mul_f32_e32 v6, s2, v6
.LBB35_4:                               ;   in Loop: Header=BB35_5 Depth=1
	v_add_co_u32_e32 v0, vcc, s3, v0
	v_addc_co_u32_e32 v1, vcc, v1, v4, vcc
	v_cmp_le_i64_e32 vcc, s[6:7], v[0:1]
	global_store_dword v[2:3], v6, off
	s_or_b64 s[10:11], vcc, s[10:11]
	v_add_co_u32_e32 v2, vcc, s4, v2
	v_addc_co_u32_e32 v3, vcc, v3, v5, vcc
	s_andn2_b64 exec, exec, s[10:11]
	s_cbranch_execz .LBB35_7
.LBB35_5:                               ; =>This Inner Loop Header: Depth=1
	s_and_b64 vcc, exec, s[0:1]
	s_cbranch_vccz .LBB35_3
; %bb.6:                                ;   in Loop: Header=BB35_5 Depth=1
	v_mov_b32_e32 v6, 0
	s_branch .LBB35_4
.LBB35_7:
	s_endpgm
	.section	.rodata,"a",@progbits
	.p2align	6, 0x0
	.amdhsa_kernel _ZL25rocblas_symm_scale_kernelILi128ELi8EfPKPfEviiT1_T2_llli
		.amdhsa_group_segment_fixed_size 0
		.amdhsa_private_segment_fixed_size 0
		.amdhsa_kernarg_size 312
		.amdhsa_user_sgpr_count 6
		.amdhsa_user_sgpr_private_segment_buffer 1
		.amdhsa_user_sgpr_dispatch_ptr 0
		.amdhsa_user_sgpr_queue_ptr 0
		.amdhsa_user_sgpr_kernarg_segment_ptr 1
		.amdhsa_user_sgpr_dispatch_id 0
		.amdhsa_user_sgpr_flat_scratch_init 0
		.amdhsa_user_sgpr_kernarg_preload_length 0
		.amdhsa_user_sgpr_kernarg_preload_offset 0
		.amdhsa_user_sgpr_private_segment_size 0
		.amdhsa_uses_dynamic_stack 0
		.amdhsa_system_sgpr_private_segment_wavefront_offset 0
		.amdhsa_system_sgpr_workgroup_id_x 1
		.amdhsa_system_sgpr_workgroup_id_y 1
		.amdhsa_system_sgpr_workgroup_id_z 1
		.amdhsa_system_sgpr_workgroup_info 0
		.amdhsa_system_vgpr_workitem_id 1
		.amdhsa_next_free_vgpr 8
		.amdhsa_next_free_sgpr 16
		.amdhsa_accum_offset 8
		.amdhsa_reserve_vcc 1
		.amdhsa_reserve_flat_scratch 0
		.amdhsa_float_round_mode_32 0
		.amdhsa_float_round_mode_16_64 0
		.amdhsa_float_denorm_mode_32 3
		.amdhsa_float_denorm_mode_16_64 3
		.amdhsa_dx10_clamp 1
		.amdhsa_ieee_mode 1
		.amdhsa_fp16_overflow 0
		.amdhsa_tg_split 0
		.amdhsa_exception_fp_ieee_invalid_op 0
		.amdhsa_exception_fp_denorm_src 0
		.amdhsa_exception_fp_ieee_div_zero 0
		.amdhsa_exception_fp_ieee_overflow 0
		.amdhsa_exception_fp_ieee_underflow 0
		.amdhsa_exception_fp_ieee_inexact 0
		.amdhsa_exception_int_div_zero 0
	.end_amdhsa_kernel
	.section	.text._ZL25rocblas_symm_scale_kernelILi128ELi8EfPKPfEviiT1_T2_llli,"axG",@progbits,_ZL25rocblas_symm_scale_kernelILi128ELi8EfPKPfEviiT1_T2_llli,comdat
.Lfunc_end35:
	.size	_ZL25rocblas_symm_scale_kernelILi128ELi8EfPKPfEviiT1_T2_llli, .Lfunc_end35-_ZL25rocblas_symm_scale_kernelILi128ELi8EfPKPfEviiT1_T2_llli
                                        ; -- End function
	.section	.AMDGPU.csdata,"",@progbits
; Kernel info:
; codeLenInByte = 372
; NumSgprs: 20
; NumVgprs: 8
; NumAgprs: 0
; TotalNumVgprs: 8
; ScratchSize: 0
; MemoryBound: 0
; FloatMode: 240
; IeeeMode: 1
; LDSByteSize: 0 bytes/workgroup (compile time only)
; SGPRBlocks: 2
; VGPRBlocks: 0
; NumSGPRsForWavesPerEU: 20
; NumVGPRsForWavesPerEU: 8
; AccumOffset: 8
; Occupancy: 8
; WaveLimiterHint : 0
; COMPUTE_PGM_RSRC2:SCRATCH_EN: 0
; COMPUTE_PGM_RSRC2:USER_SGPR: 6
; COMPUTE_PGM_RSRC2:TRAP_HANDLER: 0
; COMPUTE_PGM_RSRC2:TGID_X_EN: 1
; COMPUTE_PGM_RSRC2:TGID_Y_EN: 1
; COMPUTE_PGM_RSRC2:TGID_Z_EN: 1
; COMPUTE_PGM_RSRC2:TIDIG_COMP_CNT: 1
; COMPUTE_PGM_RSRC3_GFX90A:ACCUM_OFFSET: 1
; COMPUTE_PGM_RSRC3_GFX90A:TG_SPLIT: 0
	.section	.text._ZL24rocblas_symm_hemm_kernelILb0ELb0ELi32EfPKPKfPKPfEvbiiT2_T3_lllS8_lllT4_llli,"axG",@progbits,_ZL24rocblas_symm_hemm_kernelILb0ELb0ELi32EfPKPKfPKPfEvbiiT2_T3_lllS8_lllT4_llli,comdat
	.globl	_ZL24rocblas_symm_hemm_kernelILb0ELb0ELi32EfPKPKfPKPfEvbiiT2_T3_lllS8_lllT4_llli ; -- Begin function _ZL24rocblas_symm_hemm_kernelILb0ELb0ELi32EfPKPKfPKPfEvbiiT2_T3_lllS8_lllT4_llli
	.p2align	8
	.type	_ZL24rocblas_symm_hemm_kernelILb0ELb0ELi32EfPKPKfPKPfEvbiiT2_T3_lllS8_lllT4_llli,@function
_ZL24rocblas_symm_hemm_kernelILb0ELb0ELi32EfPKPKfPKPfEvbiiT2_T3_lllS8_lllT4_llli: ; @_ZL24rocblas_symm_hemm_kernelILb0ELb0ELi32EfPKPKfPKPfEvbiiT2_T3_lllS8_lllT4_llli
; %bb.0:
	s_load_dwordx4 s[12:15], s[4:5], 0x0
	s_waitcnt lgkmcnt(0)
	v_cmp_eq_f32_e64 s[0:1], s15, 0
	s_and_b64 vcc, exec, s[0:1]
	s_cbranch_vccnz .LBB36_13
; %bb.1:
	s_add_i32 s0, s14, -1
	s_ashr_i32 s1, s0, 31
	s_lshr_b32 s1, s1, 27
	s_add_i32 s0, s0, s1
	s_ashr_i32 s24, s0, 5
	s_cmp_gt_i32 s7, s24
	s_cbranch_scc1 .LBB36_13
; %bb.2:
	s_load_dwordx4 s[0:3], s[4:5], 0x10
	s_load_dwordx2 s[10:11], s[4:5], 0x20
	s_mov_b32 s9, 0
	s_lshl_b64 s[8:9], s[8:9], 3
	v_and_b32_e32 v6, 0x3ff, v0
	s_waitcnt lgkmcnt(0)
	s_add_u32 s0, s0, s8
	s_addc_u32 s1, s1, s9
	s_load_dwordx2 s[26:27], s[0:1], 0x0
	s_load_dwordx4 s[20:23], s[4:5], 0x30
	s_load_dwordx2 s[16:17], s[4:5], 0x40
	s_load_dwordx2 s[18:19], s[4:5], 0x60
	s_load_dwordx4 s[28:31], s[4:5], 0x50
	s_lshl_b64 s[0:1], s[2:3], 2
	s_waitcnt lgkmcnt(0)
	s_add_u32 s25, s26, s0
	s_addc_u32 s26, s27, s1
	s_add_u32 s0, s20, s8
	s_addc_u32 s1, s21, s9
	s_load_dwordx2 s[0:1], s[0:1], 0x0
	s_lshl_b64 s[2:3], s[22:23], 2
	v_bfe_u32 v7, v0, 10, 10
	v_lshl_add_u32 v0, s6, 5, v6
	v_lshlrev_b32_e32 v1, 2, v7
	s_waitcnt lgkmcnt(0)
	s_add_u32 s6, s0, s2
	s_addc_u32 s27, s1, s3
	s_add_u32 s0, s28, s8
	s_addc_u32 s1, s29, s9
	s_load_dwordx2 s[2:3], s[0:1], 0x0
	s_bitcmp1_b32 s12, 0
	s_cselect_b64 s[0:1], -1, 0
	s_lshl_b64 s[8:9], s[30:31], 2
	v_lshlrev_b32_e32 v8, 7, v6
	s_waitcnt lgkmcnt(0)
	s_add_u32 s8, s2, s8
	s_addc_u32 s9, s3, s9
	s_load_dword s12, s[4:5], 0x7c
	s_cmp_gt_i32 s13, 0
	v_add_u32_e32 v9, v8, v1
	v_or_b32_e32 v10, 0x1000, v1
	v_ashrrev_i32_e32 v1, 31, v0
	v_lshlrev_b64 v[2:3], 2, v[0:1]
	s_cselect_b64 s[4:5], -1, 0
	v_mov_b32_e32 v4, s9
	v_add_co_u32_e32 v1, vcc, s8, v2
	v_cndmask_b32_e64 v2, 0, 1, s[4:5]
	v_add_u32_e32 v11, v10, v8
	v_cmp_gt_i32_e64 s[2:3], s13, v0
	v_addc_co_u32_e32 v12, vcc, v4, v3, vcc
	v_cmp_ne_u32_e64 s[4:5], 1, v2
	v_add_u32_e32 v13, 0x400, v10
	v_add_u32_e32 v14, 0x800, v10
	;; [unrolled: 1-line block ×3, first 2 shown]
	s_branch .LBB36_4
.LBB36_3:                               ;   in Loop: Header=BB36_4 Depth=1
	s_waitcnt lgkmcnt(0)
	s_add_i32 s7, s7, s12
	s_cmp_gt_i32 s7, s24
	s_cbranch_scc1 .LBB36_13
.LBB36_4:                               ; =>This Loop Header: Depth=1
                                        ;     Child Loop BB36_7 Depth 2
	s_and_b64 vcc, exec, s[4:5]
	s_cbranch_vccnz .LBB36_3
; %bb.5:                                ;   in Loop: Header=BB36_4 Depth=1
	v_lshl_add_u32 v4, s7, 5, v7
	v_ashrrev_i32_e32 v5, 31, v4
	v_mul_lo_u32 v16, v5, s16
	v_mul_lo_u32 v17, v4, s17
	v_mad_u64_u32 v[2:3], s[8:9], v4, s16, 0
	v_add3_u32 v3, v3, v17, v16
	v_lshlrev_b64 v[2:3], 2, v[2:3]
	v_mov_b32_e32 v17, s27
	v_add_co_u32_e64 v16, s[8:9], s6, v2
	v_addc_co_u32_e64 v17, s[8:9], v17, v3, s[8:9]
	v_mul_lo_u32 v5, v5, s18
	v_mul_lo_u32 v18, v4, s19
	v_mad_u64_u32 v[2:3], s[8:9], v4, s18, 0
	v_add3_u32 v3, v3, v18, v5
	v_lshlrev_b64 v[2:3], 2, v[2:3]
	v_cmp_gt_i32_e32 vcc, s14, v4
	v_add_co_u32_e64 v2, s[8:9], v1, v2
	s_and_b64 s[20:21], s[2:3], vcc
	v_addc_co_u32_e64 v3, s[8:9], v12, v3, s[8:9]
	s_mov_b32 s28, 0
	s_branch .LBB36_7
.LBB36_6:                               ;   in Loop: Header=BB36_7 Depth=2
	s_or_b64 exec, exec, s[8:9]
	s_add_i32 s28, s28, 32
	s_cmp_ge_i32 s28, s13
	s_barrier
	s_cbranch_scc1 .LBB36_3
.LBB36_7:                               ;   Parent Loop BB36_4 Depth=1
                                        ; =>  This Inner Loop Header: Depth=2
	v_add_u32_e32 v5, s28, v7
	v_cndmask_b32_e64 v4, v5, v0, s[0:1]
	v_cndmask_b32_e64 v18, v0, v5, s[0:1]
	v_cmp_gt_i32_e64 s[8:9], v4, v18
	v_cndmask_b32_e64 v4, v0, v5, s[8:9]
	v_cndmask_b32_e64 v5, v5, v0, s[8:9]
	v_max_i32_e32 v18, v4, v5
	v_cmp_gt_i32_e64 s[8:9], s13, v18
	v_mov_b32_e32 v18, 0
	v_mov_b32_e32 v19, 0
	s_and_saveexec_b64 s[22:23], s[8:9]
	s_cbranch_execz .LBB36_9
; %bb.8:                                ;   in Loop: Header=BB36_7 Depth=2
	v_ashrrev_i32_e32 v19, 31, v5
	v_mul_lo_u32 v22, v5, s11
	v_mul_lo_u32 v19, v19, s10
	v_mad_u64_u32 v[20:21], s[8:9], v5, s10, 0
	v_add3_u32 v21, v21, v22, v19
	v_lshlrev_b64 v[20:21], 2, v[20:21]
	v_ashrrev_i32_e32 v5, 31, v4
	v_mov_b32_e32 v19, s26
	v_add_co_u32_e64 v20, s[8:9], s25, v20
	v_addc_co_u32_e64 v19, s[8:9], v19, v21, s[8:9]
	v_lshlrev_b64 v[4:5], 2, v[4:5]
	v_add_co_u32_e64 v4, s[8:9], v20, v4
	v_addc_co_u32_e64 v5, s[8:9], v19, v5, s[8:9]
	global_load_dword v19, v[4:5], off
.LBB36_9:                               ;   in Loop: Header=BB36_7 Depth=2
	s_or_b64 exec, exec, s[22:23]
	v_add_u32_e32 v4, s28, v6
	v_cmp_gt_i32_e64 s[8:9], s13, v4
	s_and_b64 s[8:9], s[8:9], vcc
	s_waitcnt vmcnt(0)
	ds_write_b32 v9, v19
	s_and_saveexec_b64 s[22:23], s[8:9]
	s_cbranch_execz .LBB36_11
; %bb.10:                               ;   in Loop: Header=BB36_7 Depth=2
	v_ashrrev_i32_e32 v5, 31, v4
	v_lshlrev_b64 v[4:5], 2, v[4:5]
	v_add_co_u32_e64 v4, s[8:9], v16, v4
	v_addc_co_u32_e64 v5, s[8:9], v17, v5, s[8:9]
	global_load_dword v18, v[4:5], off
.LBB36_11:                              ;   in Loop: Header=BB36_7 Depth=2
	s_or_b64 exec, exec, s[22:23]
	s_waitcnt vmcnt(0)
	ds_write_b32 v11, v18
	s_waitcnt lgkmcnt(0)
	s_barrier
	s_and_saveexec_b64 s[8:9], s[20:21]
	s_cbranch_execz .LBB36_6
; %bb.12:                               ;   in Loop: Header=BB36_7 Depth=2
	global_load_dword v38, v[2:3], off
	ds_read2_b32 v[4:5], v10 offset1:32
	ds_read_b128 v[18:21], v8
	ds_read_b128 v[22:25], v8 offset:16
	ds_read2_b32 v[34:35], v10 offset0:64 offset1:96
	ds_read_b128 v[26:29], v8 offset:32
	ds_read_b128 v[30:33], v8 offset:48
	ds_read2_b32 v[36:37], v10 offset0:128 offset1:160
	s_waitcnt lgkmcnt(5)
	v_fma_f32 v39, v18, v4, 0
	v_fmac_f32_e32 v39, v19, v5
	ds_read2_b32 v[4:5], v10 offset0:192 offset1:224
	s_waitcnt lgkmcnt(4)
	v_fmac_f32_e32 v39, v20, v34
	v_fmac_f32_e32 v39, v21, v35
	ds_read2_b32 v[18:19], v13 offset1:32
	s_waitcnt lgkmcnt(2)
	v_fmac_f32_e32 v39, v22, v36
	v_fmac_f32_e32 v39, v23, v37
	ds_read2_b32 v[20:21], v13 offset0:64 offset1:96
	s_waitcnt lgkmcnt(2)
	v_fmac_f32_e32 v39, v24, v4
	v_fmac_f32_e32 v39, v25, v5
	ds_read2_b32 v[4:5], v13 offset0:128 offset1:160
	s_waitcnt lgkmcnt(2)
	v_fmac_f32_e32 v39, v26, v18
	v_fmac_f32_e32 v39, v27, v19
	s_waitcnt lgkmcnt(1)
	v_fmac_f32_e32 v39, v28, v20
	ds_read2_b32 v[22:23], v13 offset0:192 offset1:224
	v_fmac_f32_e32 v39, v29, v21
	s_waitcnt lgkmcnt(1)
	v_fmac_f32_e32 v39, v30, v4
	v_fmac_f32_e32 v39, v31, v5
	ds_read2_b32 v[4:5], v14 offset1:32
	ds_read_b128 v[18:21], v8 offset:64
	s_waitcnt lgkmcnt(2)
	v_fmac_f32_e32 v39, v32, v22
	v_fmac_f32_e32 v39, v33, v23
	ds_read2_b32 v[26:27], v14 offset0:64 offset1:96
	ds_read_b128 v[22:25], v8 offset:80
	ds_read2_b32 v[28:29], v14 offset0:128 offset1:160
	s_waitcnt lgkmcnt(3)
	v_fmac_f32_e32 v39, v18, v4
	v_fmac_f32_e32 v39, v19, v5
	ds_read2_b32 v[4:5], v14 offset0:192 offset1:224
	s_waitcnt lgkmcnt(3)
	v_fmac_f32_e32 v39, v20, v26
	v_fmac_f32_e32 v39, v21, v27
	ds_read2_b32 v[26:27], v15 offset1:32
	ds_read_b128 v[18:21], v8 offset:96
	s_waitcnt lgkmcnt(3)
	v_fmac_f32_e32 v39, v22, v28
	v_fmac_f32_e32 v39, v23, v29
	s_waitcnt lgkmcnt(2)
	v_pk_mul_f32 v[4:5], v[24:25], v[4:5]
	v_add_f32_e32 v4, v39, v4
	v_add_f32_e32 v28, v4, v5
	ds_read2_b32 v[4:5], v15 offset0:64 offset1:96
	ds_read_b128 v[22:25], v8 offset:112
	s_waitcnt lgkmcnt(2)
	v_pk_mul_f32 v[18:19], v[18:19], v[26:27]
	v_add_f32_e32 v18, v28, v18
	v_add_f32_e32 v26, v18, v19
	ds_read2_b32 v[18:19], v15 offset0:128 offset1:160
	s_waitcnt lgkmcnt(2)
	v_pk_mul_f32 v[4:5], v[20:21], v[4:5]
	ds_read2_b32 v[20:21], v15 offset0:192 offset1:224
	v_add_f32_e32 v4, v26, v4
	v_add_f32_e32 v26, v4, v5
	s_waitcnt lgkmcnt(1)
	v_pk_mul_f32 v[4:5], v[22:23], v[18:19]
	v_add_f32_e32 v4, v26, v4
	v_add_f32_e32 v18, v4, v5
	s_waitcnt lgkmcnt(0)
	v_pk_mul_f32 v[4:5], v[24:25], v[20:21]
	v_add_f32_e32 v4, v18, v4
	v_add_f32_e32 v4, v4, v5
	s_waitcnt vmcnt(0)
	v_fmac_f32_e32 v38, s15, v4
	global_store_dword v[2:3], v38, off
	s_branch .LBB36_6
.LBB36_13:
	s_endpgm
	.section	.rodata,"a",@progbits
	.p2align	6, 0x0
	.amdhsa_kernel _ZL24rocblas_symm_hemm_kernelILb0ELb0ELi32EfPKPKfPKPfEvbiiT2_T3_lllS8_lllT4_llli
		.amdhsa_group_segment_fixed_size 8192
		.amdhsa_private_segment_fixed_size 0
		.amdhsa_kernarg_size 376
		.amdhsa_user_sgpr_count 6
		.amdhsa_user_sgpr_private_segment_buffer 1
		.amdhsa_user_sgpr_dispatch_ptr 0
		.amdhsa_user_sgpr_queue_ptr 0
		.amdhsa_user_sgpr_kernarg_segment_ptr 1
		.amdhsa_user_sgpr_dispatch_id 0
		.amdhsa_user_sgpr_flat_scratch_init 0
		.amdhsa_user_sgpr_kernarg_preload_length 0
		.amdhsa_user_sgpr_kernarg_preload_offset 0
		.amdhsa_user_sgpr_private_segment_size 0
		.amdhsa_uses_dynamic_stack 0
		.amdhsa_system_sgpr_private_segment_wavefront_offset 0
		.amdhsa_system_sgpr_workgroup_id_x 1
		.amdhsa_system_sgpr_workgroup_id_y 1
		.amdhsa_system_sgpr_workgroup_id_z 1
		.amdhsa_system_sgpr_workgroup_info 0
		.amdhsa_system_vgpr_workitem_id 1
		.amdhsa_next_free_vgpr 40
		.amdhsa_next_free_sgpr 32
		.amdhsa_accum_offset 40
		.amdhsa_reserve_vcc 1
		.amdhsa_reserve_flat_scratch 0
		.amdhsa_float_round_mode_32 0
		.amdhsa_float_round_mode_16_64 0
		.amdhsa_float_denorm_mode_32 3
		.amdhsa_float_denorm_mode_16_64 3
		.amdhsa_dx10_clamp 1
		.amdhsa_ieee_mode 1
		.amdhsa_fp16_overflow 0
		.amdhsa_tg_split 0
		.amdhsa_exception_fp_ieee_invalid_op 0
		.amdhsa_exception_fp_denorm_src 0
		.amdhsa_exception_fp_ieee_div_zero 0
		.amdhsa_exception_fp_ieee_overflow 0
		.amdhsa_exception_fp_ieee_underflow 0
		.amdhsa_exception_fp_ieee_inexact 0
		.amdhsa_exception_int_div_zero 0
	.end_amdhsa_kernel
	.section	.text._ZL24rocblas_symm_hemm_kernelILb0ELb0ELi32EfPKPKfPKPfEvbiiT2_T3_lllS8_lllT4_llli,"axG",@progbits,_ZL24rocblas_symm_hemm_kernelILb0ELb0ELi32EfPKPKfPKPfEvbiiT2_T3_lllS8_lllT4_llli,comdat
.Lfunc_end36:
	.size	_ZL24rocblas_symm_hemm_kernelILb0ELb0ELi32EfPKPKfPKPfEvbiiT2_T3_lllS8_lllT4_llli, .Lfunc_end36-_ZL24rocblas_symm_hemm_kernelILb0ELb0ELi32EfPKPKfPKPfEvbiiT2_T3_lllS8_lllT4_llli
                                        ; -- End function
	.section	.AMDGPU.csdata,"",@progbits
; Kernel info:
; codeLenInByte = 1288
; NumSgprs: 36
; NumVgprs: 40
; NumAgprs: 0
; TotalNumVgprs: 40
; ScratchSize: 0
; MemoryBound: 0
; FloatMode: 240
; IeeeMode: 1
; LDSByteSize: 8192 bytes/workgroup (compile time only)
; SGPRBlocks: 4
; VGPRBlocks: 4
; NumSGPRsForWavesPerEU: 36
; NumVGPRsForWavesPerEU: 40
; AccumOffset: 40
; Occupancy: 8
; WaveLimiterHint : 1
; COMPUTE_PGM_RSRC2:SCRATCH_EN: 0
; COMPUTE_PGM_RSRC2:USER_SGPR: 6
; COMPUTE_PGM_RSRC2:TRAP_HANDLER: 0
; COMPUTE_PGM_RSRC2:TGID_X_EN: 1
; COMPUTE_PGM_RSRC2:TGID_Y_EN: 1
; COMPUTE_PGM_RSRC2:TGID_Z_EN: 1
; COMPUTE_PGM_RSRC2:TIDIG_COMP_CNT: 1
; COMPUTE_PGM_RSRC3_GFX90A:ACCUM_OFFSET: 9
; COMPUTE_PGM_RSRC3_GFX90A:TG_SPLIT: 0
	.section	.text._ZL24rocblas_symm_hemm_kernelILb0ELb1ELi32EfPKPKfPKPfEvbiiT2_T3_lllS8_lllT4_llli,"axG",@progbits,_ZL24rocblas_symm_hemm_kernelILb0ELb1ELi32EfPKPKfPKPfEvbiiT2_T3_lllS8_lllT4_llli,comdat
	.globl	_ZL24rocblas_symm_hemm_kernelILb0ELb1ELi32EfPKPKfPKPfEvbiiT2_T3_lllS8_lllT4_llli ; -- Begin function _ZL24rocblas_symm_hemm_kernelILb0ELb1ELi32EfPKPKfPKPfEvbiiT2_T3_lllS8_lllT4_llli
	.p2align	8
	.type	_ZL24rocblas_symm_hemm_kernelILb0ELb1ELi32EfPKPKfPKPfEvbiiT2_T3_lllS8_lllT4_llli,@function
_ZL24rocblas_symm_hemm_kernelILb0ELb1ELi32EfPKPKfPKPfEvbiiT2_T3_lllS8_lllT4_llli: ; @_ZL24rocblas_symm_hemm_kernelILb0ELb1ELi32EfPKPKfPKPfEvbiiT2_T3_lllS8_lllT4_llli
; %bb.0:
	s_load_dwordx4 s[12:15], s[4:5], 0x0
	s_waitcnt lgkmcnt(0)
	v_cmp_eq_f32_e64 s[0:1], s15, 0
	s_and_b64 vcc, exec, s[0:1]
	s_cbranch_vccnz .LBB37_13
; %bb.1:
	s_add_i32 s0, s14, -1
	s_ashr_i32 s1, s0, 31
	s_lshr_b32 s1, s1, 27
	s_add_i32 s0, s0, s1
	s_ashr_i32 s20, s0, 5
	s_cmp_gt_i32 s7, s20
	s_cbranch_scc1 .LBB37_13
; %bb.2:
	s_load_dwordx4 s[0:3], s[4:5], 0x10
	s_load_dwordx2 s[10:11], s[4:5], 0x20
	s_mov_b32 s9, 0
	s_lshl_b64 s[18:19], s[8:9], 3
	v_and_b32_e32 v4, 0x3ff, v0
	s_waitcnt lgkmcnt(0)
	s_add_u32 s0, s0, s18
	s_addc_u32 s1, s1, s19
	s_load_dwordx2 s[22:23], s[0:1], 0x0
	s_load_dwordx4 s[24:27], s[4:5], 0x30
	s_load_dwordx2 s[8:9], s[4:5], 0x40
	s_load_dwordx2 s[16:17], s[4:5], 0x60
	s_load_dwordx4 s[28:31], s[4:5], 0x50
	s_lshl_b64 s[0:1], s[2:3], 2
	s_waitcnt lgkmcnt(0)
	s_add_u32 s21, s22, s0
	s_addc_u32 s22, s23, s1
	s_add_u32 s0, s24, s18
	s_addc_u32 s1, s25, s19
	;; [unrolled: 2-line block ×3, first 2 shown]
	s_load_dwordx2 s[18:19], s[2:3], 0x0
	s_load_dwordx2 s[24:25], s[0:1], 0x0
	s_bitcmp1_b32 s12, 0
	s_cselect_b64 s[0:1], -1, 0
	s_lshl_b64 s[2:3], s[30:31], 2
	s_waitcnt lgkmcnt(0)
	s_add_u32 s12, s18, s2
	s_addc_u32 s18, s19, s3
	s_lshl_b64 s[2:3], s[26:27], 2
	v_lshl_add_u32 v2, s6, 5, v4
	s_add_u32 s19, s24, s2
	v_ashrrev_i32_e32 v3, 31, v2
	s_addc_u32 s23, s25, s3
	v_bfe_u32 v5, v0, 10, 10
	v_lshlrev_b64 v[0:1], 2, v[2:3]
	s_load_dword s6, s[4:5], 0x7c
	s_cmp_gt_i32 s14, 0
	v_cmp_gt_i32_e64 s[2:3], s13, v2
	v_mov_b32_e32 v2, s23
	v_add_co_u32_e32 v6, vcc, s19, v0
	v_addc_co_u32_e32 v7, vcc, v2, v1, vcc
	v_lshlrev_b32_e32 v2, 2, v5
	v_lshlrev_b32_e32 v8, 7, v4
	s_cselect_b64 s[4:5], -1, 0
	v_add_u32_e32 v9, v8, v2
	v_or_b32_e32 v10, 0x1000, v2
	v_mov_b32_e32 v2, s18
	v_add_co_u32_e32 v12, vcc, s12, v0
	v_cndmask_b32_e64 v0, 0, 1, s[4:5]
	v_add_u32_e32 v11, v10, v8
	v_addc_co_u32_e32 v13, vcc, v2, v1, vcc
	v_cmp_ne_u32_e64 s[4:5], 1, v0
	v_add_u32_e32 v14, 0x400, v10
	v_add_u32_e32 v15, 0x800, v10
	;; [unrolled: 1-line block ×3, first 2 shown]
	s_branch .LBB37_4
.LBB37_3:                               ;   in Loop: Header=BB37_4 Depth=1
	s_waitcnt lgkmcnt(0)
	s_add_i32 s7, s7, s6
	s_cmp_gt_i32 s7, s20
	s_cbranch_scc1 .LBB37_13
.LBB37_4:                               ; =>This Loop Header: Depth=1
                                        ;     Child Loop BB37_7 Depth 2
	s_and_b64 vcc, exec, s[4:5]
	s_cbranch_vccnz .LBB37_3
; %bb.5:                                ;   in Loop: Header=BB37_4 Depth=1
	v_lshl_add_u32 v17, s7, 5, v5
	v_ashrrev_i32_e32 v0, 31, v17
	v_mul_lo_u32 v2, v0, s16
	v_mul_lo_u32 v3, v17, s17
	v_mad_u64_u32 v[0:1], s[18:19], v17, s16, 0
	v_add3_u32 v1, v1, v3, v2
	v_cmp_gt_i32_e32 vcc, s14, v17
	v_lshlrev_b64 v[0:1], 2, v[0:1]
	s_and_b64 s[12:13], s[2:3], vcc
	v_add_co_u32_e32 v0, vcc, v12, v0
	v_addc_co_u32_e32 v1, vcc, v13, v1, vcc
	s_mov_b32 s23, 0
	s_branch .LBB37_7
.LBB37_6:                               ;   in Loop: Header=BB37_7 Depth=2
	s_or_b64 exec, exec, s[18:19]
	s_add_i32 s23, s23, 32
	s_cmp_ge_i32 s23, s14
	s_barrier
	s_cbranch_scc1 .LBB37_3
.LBB37_7:                               ;   Parent Loop BB37_4 Depth=1
                                        ; =>  This Inner Loop Header: Depth=2
	v_add_u32_e32 v2, s23, v5
	v_cmp_gt_i32_e32 vcc, s14, v2
	s_and_b64 s[24:25], s[2:3], vcc
	v_mov_b32_e32 v3, 0
	v_mov_b32_e32 v18, 0
	s_and_saveexec_b64 s[18:19], s[24:25]
	s_cbranch_execz .LBB37_9
; %bb.8:                                ;   in Loop: Header=BB37_7 Depth=2
	v_ashrrev_i32_e32 v18, 31, v2
	v_mul_lo_u32 v20, v2, s9
	v_mul_lo_u32 v21, v18, s8
	v_mad_u64_u32 v[18:19], s[24:25], v2, s8, 0
	v_add3_u32 v19, v19, v20, v21
	v_lshlrev_b64 v[18:19], 2, v[18:19]
	v_add_co_u32_e32 v18, vcc, v6, v18
	v_addc_co_u32_e32 v19, vcc, v7, v19, vcc
	global_load_dword v18, v[18:19], off
.LBB37_9:                               ;   in Loop: Header=BB37_7 Depth=2
	s_or_b64 exec, exec, s[18:19]
	s_waitcnt vmcnt(0)
	ds_write_b32 v9, v18
	v_add_u32_e32 v18, s23, v4
	v_cndmask_b32_e64 v2, v17, v18, s[0:1]
	v_cndmask_b32_e64 v19, v18, v17, s[0:1]
	v_cmp_gt_i32_e32 vcc, v2, v19
	v_cndmask_b32_e32 v2, v18, v17, vcc
	v_cndmask_b32_e32 v18, v17, v18, vcc
	v_max_i32_e32 v19, v2, v18
	v_cmp_gt_i32_e32 vcc, s14, v19
	s_and_saveexec_b64 s[18:19], vcc
	s_cbranch_execz .LBB37_11
; %bb.10:                               ;   in Loop: Header=BB37_7 Depth=2
	v_ashrrev_i32_e32 v3, 31, v18
	v_mul_lo_u32 v20, v18, s11
	v_mul_lo_u32 v3, v3, s10
	v_mad_u64_u32 v[18:19], s[24:25], v18, s10, 0
	v_add3_u32 v19, v19, v20, v3
	v_lshlrev_b64 v[18:19], 2, v[18:19]
	v_ashrrev_i32_e32 v3, 31, v2
	v_mov_b32_e32 v20, s22
	v_add_co_u32_e32 v18, vcc, s21, v18
	v_addc_co_u32_e32 v19, vcc, v20, v19, vcc
	v_lshlrev_b64 v[2:3], 2, v[2:3]
	v_add_co_u32_e32 v2, vcc, v18, v2
	v_addc_co_u32_e32 v3, vcc, v19, v3, vcc
	global_load_dword v3, v[2:3], off
.LBB37_11:                              ;   in Loop: Header=BB37_7 Depth=2
	s_or_b64 exec, exec, s[18:19]
	s_waitcnt vmcnt(0)
	ds_write_b32 v11, v3
	s_waitcnt lgkmcnt(0)
	s_barrier
	s_and_saveexec_b64 s[18:19], s[12:13]
	s_cbranch_execz .LBB37_6
; %bb.12:                               ;   in Loop: Header=BB37_7 Depth=2
	global_load_dword v38, v[0:1], off
	ds_read2_b32 v[2:3], v10 offset1:32
	ds_read_b128 v[18:21], v8
	ds_read_b128 v[22:25], v8 offset:16
	ds_read2_b32 v[34:35], v10 offset0:64 offset1:96
	ds_read_b128 v[26:29], v8 offset:32
	ds_read_b128 v[30:33], v8 offset:48
	ds_read2_b32 v[36:37], v10 offset0:128 offset1:160
	s_waitcnt lgkmcnt(5)
	v_fma_f32 v39, v18, v2, 0
	v_fmac_f32_e32 v39, v19, v3
	ds_read2_b32 v[2:3], v10 offset0:192 offset1:224
	s_waitcnt lgkmcnt(4)
	v_fmac_f32_e32 v39, v20, v34
	v_fmac_f32_e32 v39, v21, v35
	ds_read2_b32 v[18:19], v14 offset1:32
	s_waitcnt lgkmcnt(2)
	v_fmac_f32_e32 v39, v22, v36
	v_fmac_f32_e32 v39, v23, v37
	ds_read2_b32 v[20:21], v14 offset0:64 offset1:96
	s_waitcnt lgkmcnt(2)
	v_fmac_f32_e32 v39, v24, v2
	v_fmac_f32_e32 v39, v25, v3
	ds_read2_b32 v[2:3], v14 offset0:128 offset1:160
	s_waitcnt lgkmcnt(2)
	v_fmac_f32_e32 v39, v26, v18
	v_fmac_f32_e32 v39, v27, v19
	s_waitcnt lgkmcnt(1)
	v_fmac_f32_e32 v39, v28, v20
	ds_read2_b32 v[22:23], v14 offset0:192 offset1:224
	v_fmac_f32_e32 v39, v29, v21
	s_waitcnt lgkmcnt(1)
	v_fmac_f32_e32 v39, v30, v2
	v_fmac_f32_e32 v39, v31, v3
	ds_read2_b32 v[2:3], v15 offset1:32
	ds_read_b128 v[18:21], v8 offset:64
	s_waitcnt lgkmcnt(2)
	v_fmac_f32_e32 v39, v32, v22
	v_fmac_f32_e32 v39, v33, v23
	ds_read2_b32 v[26:27], v15 offset0:64 offset1:96
	ds_read_b128 v[22:25], v8 offset:80
	ds_read2_b32 v[28:29], v15 offset0:128 offset1:160
	s_waitcnt lgkmcnt(3)
	v_fmac_f32_e32 v39, v18, v2
	v_fmac_f32_e32 v39, v19, v3
	ds_read2_b32 v[2:3], v15 offset0:192 offset1:224
	s_waitcnt lgkmcnt(3)
	v_fmac_f32_e32 v39, v20, v26
	v_fmac_f32_e32 v39, v21, v27
	ds_read2_b32 v[26:27], v16 offset1:32
	ds_read_b128 v[18:21], v8 offset:96
	s_waitcnt lgkmcnt(3)
	v_fmac_f32_e32 v39, v22, v28
	v_fmac_f32_e32 v39, v23, v29
	s_waitcnt lgkmcnt(2)
	v_pk_mul_f32 v[2:3], v[24:25], v[2:3]
	v_add_f32_e32 v2, v39, v2
	v_add_f32_e32 v28, v2, v3
	ds_read2_b32 v[2:3], v16 offset0:64 offset1:96
	ds_read_b128 v[22:25], v8 offset:112
	s_waitcnt lgkmcnt(2)
	v_pk_mul_f32 v[18:19], v[18:19], v[26:27]
	v_add_f32_e32 v18, v28, v18
	v_add_f32_e32 v26, v18, v19
	ds_read2_b32 v[18:19], v16 offset0:128 offset1:160
	s_waitcnt lgkmcnt(2)
	v_pk_mul_f32 v[2:3], v[20:21], v[2:3]
	ds_read2_b32 v[20:21], v16 offset0:192 offset1:224
	v_add_f32_e32 v2, v26, v2
	v_add_f32_e32 v26, v2, v3
	s_waitcnt lgkmcnt(1)
	v_pk_mul_f32 v[2:3], v[22:23], v[18:19]
	v_add_f32_e32 v2, v26, v2
	v_add_f32_e32 v18, v2, v3
	s_waitcnt lgkmcnt(0)
	v_pk_mul_f32 v[2:3], v[24:25], v[20:21]
	v_add_f32_e32 v2, v18, v2
	v_add_f32_e32 v2, v2, v3
	s_waitcnt vmcnt(0)
	v_fmac_f32_e32 v38, s15, v2
	global_store_dword v[0:1], v38, off
	s_branch .LBB37_6
.LBB37_13:
	s_endpgm
	.section	.rodata,"a",@progbits
	.p2align	6, 0x0
	.amdhsa_kernel _ZL24rocblas_symm_hemm_kernelILb0ELb1ELi32EfPKPKfPKPfEvbiiT2_T3_lllS8_lllT4_llli
		.amdhsa_group_segment_fixed_size 8192
		.amdhsa_private_segment_fixed_size 0
		.amdhsa_kernarg_size 376
		.amdhsa_user_sgpr_count 6
		.amdhsa_user_sgpr_private_segment_buffer 1
		.amdhsa_user_sgpr_dispatch_ptr 0
		.amdhsa_user_sgpr_queue_ptr 0
		.amdhsa_user_sgpr_kernarg_segment_ptr 1
		.amdhsa_user_sgpr_dispatch_id 0
		.amdhsa_user_sgpr_flat_scratch_init 0
		.amdhsa_user_sgpr_kernarg_preload_length 0
		.amdhsa_user_sgpr_kernarg_preload_offset 0
		.amdhsa_user_sgpr_private_segment_size 0
		.amdhsa_uses_dynamic_stack 0
		.amdhsa_system_sgpr_private_segment_wavefront_offset 0
		.amdhsa_system_sgpr_workgroup_id_x 1
		.amdhsa_system_sgpr_workgroup_id_y 1
		.amdhsa_system_sgpr_workgroup_id_z 1
		.amdhsa_system_sgpr_workgroup_info 0
		.amdhsa_system_vgpr_workitem_id 1
		.amdhsa_next_free_vgpr 40
		.amdhsa_next_free_sgpr 32
		.amdhsa_accum_offset 40
		.amdhsa_reserve_vcc 1
		.amdhsa_reserve_flat_scratch 0
		.amdhsa_float_round_mode_32 0
		.amdhsa_float_round_mode_16_64 0
		.amdhsa_float_denorm_mode_32 3
		.amdhsa_float_denorm_mode_16_64 3
		.amdhsa_dx10_clamp 1
		.amdhsa_ieee_mode 1
		.amdhsa_fp16_overflow 0
		.amdhsa_tg_split 0
		.amdhsa_exception_fp_ieee_invalid_op 0
		.amdhsa_exception_fp_denorm_src 0
		.amdhsa_exception_fp_ieee_div_zero 0
		.amdhsa_exception_fp_ieee_overflow 0
		.amdhsa_exception_fp_ieee_underflow 0
		.amdhsa_exception_fp_ieee_inexact 0
		.amdhsa_exception_int_div_zero 0
	.end_amdhsa_kernel
	.section	.text._ZL24rocblas_symm_hemm_kernelILb0ELb1ELi32EfPKPKfPKPfEvbiiT2_T3_lllS8_lllT4_llli,"axG",@progbits,_ZL24rocblas_symm_hemm_kernelILb0ELb1ELi32EfPKPKfPKPfEvbiiT2_T3_lllS8_lllT4_llli,comdat
.Lfunc_end37:
	.size	_ZL24rocblas_symm_hemm_kernelILb0ELb1ELi32EfPKPKfPKPfEvbiiT2_T3_lllS8_lllT4_llli, .Lfunc_end37-_ZL24rocblas_symm_hemm_kernelILb0ELb1ELi32EfPKPKfPKPfEvbiiT2_T3_lllS8_lllT4_llli
                                        ; -- End function
	.section	.AMDGPU.csdata,"",@progbits
; Kernel info:
; codeLenInByte = 1216
; NumSgprs: 36
; NumVgprs: 40
; NumAgprs: 0
; TotalNumVgprs: 40
; ScratchSize: 0
; MemoryBound: 0
; FloatMode: 240
; IeeeMode: 1
; LDSByteSize: 8192 bytes/workgroup (compile time only)
; SGPRBlocks: 4
; VGPRBlocks: 4
; NumSGPRsForWavesPerEU: 36
; NumVGPRsForWavesPerEU: 40
; AccumOffset: 40
; Occupancy: 8
; WaveLimiterHint : 1
; COMPUTE_PGM_RSRC2:SCRATCH_EN: 0
; COMPUTE_PGM_RSRC2:USER_SGPR: 6
; COMPUTE_PGM_RSRC2:TRAP_HANDLER: 0
; COMPUTE_PGM_RSRC2:TGID_X_EN: 1
; COMPUTE_PGM_RSRC2:TGID_Y_EN: 1
; COMPUTE_PGM_RSRC2:TGID_Z_EN: 1
; COMPUTE_PGM_RSRC2:TIDIG_COMP_CNT: 1
; COMPUTE_PGM_RSRC3_GFX90A:ACCUM_OFFSET: 9
; COMPUTE_PGM_RSRC3_GFX90A:TG_SPLIT: 0
	.section	.text._ZL25rocblas_symm_scale_kernelILi128ELi8EPKdPKPdEviiT1_T2_llli,"axG",@progbits,_ZL25rocblas_symm_scale_kernelILi128ELi8EPKdPKPdEviiT1_T2_llli,comdat
	.globl	_ZL25rocblas_symm_scale_kernelILi128ELi8EPKdPKPdEviiT1_T2_llli ; -- Begin function _ZL25rocblas_symm_scale_kernelILi128ELi8EPKdPKPdEviiT1_T2_llli
	.p2align	8
	.type	_ZL25rocblas_symm_scale_kernelILi128ELi8EPKdPKPdEviiT1_T2_llli,@function
_ZL25rocblas_symm_scale_kernelILi128ELi8EPKdPKPdEviiT1_T2_llli: ; @_ZL25rocblas_symm_scale_kernelILi128ELi8EPKdPKPdEviiT1_T2_llli
; %bb.0:
	s_load_dwordx8 s[12:19], s[4:5], 0x8
	s_waitcnt lgkmcnt(0)
	s_load_dwordx2 s[2:3], s[12:13], 0x0
	s_waitcnt lgkmcnt(0)
	v_cmp_eq_f64_e64 s[0:1], s[2:3], 1.0
	s_and_b64 vcc, exec, s[0:1]
	s_cbranch_vccnz .LBB38_7
; %bb.1:
	s_load_dwordx2 s[0:1], s[4:5], 0x0
	v_and_b32_e32 v1, 0x3ff, v0
	v_bfe_u32 v0, v0, 10, 10
	v_lshl_add_u32 v2, s6, 7, v1
	v_lshl_add_u32 v0, s7, 3, v0
	v_mov_b32_e32 v1, 0
	s_waitcnt lgkmcnt(0)
	s_ashr_i32 s7, s1, 31
	s_mov_b32 s6, s1
	v_cmp_gt_u32_e32 vcc, s0, v2
	v_cmp_gt_i64_e64 s[0:1], s[6:7], v[0:1]
	s_and_b64 s[0:1], vcc, s[0:1]
	s_and_saveexec_b64 s[10:11], s[0:1]
	s_cbranch_execz .LBB38_7
; %bb.2:
	s_mov_b32 s9, 0
	v_mad_u64_u32 v[4:5], s[10:11], s18, v0, 0
	s_lshl_b64 s[0:1], s[8:9], 3
	v_mov_b32_e32 v6, v5
	s_add_u32 s0, s14, s0
	v_mad_u64_u32 v[6:7], s[10:11], s19, v0, v[6:7]
	s_load_dword s8, s[4:5], 0x3c
	s_addc_u32 s1, s15, s1
	v_mov_b32_e32 v5, v6
	s_load_dwordx2 s[0:1], s[0:1], 0x0
	v_lshlrev_b64 v[4:5], 3, v[4:5]
	s_lshl_b64 s[10:11], s[16:17], 3
	v_mov_b32_e32 v3, v1
	v_mov_b32_e32 v6, s11
	v_add_co_u32_e32 v4, vcc, s10, v4
	v_addc_co_u32_e32 v5, vcc, v5, v6, vcc
	v_lshlrev_b64 v[2:3], 3, v[2:3]
	v_add_co_u32_e32 v2, vcc, v4, v2
	s_waitcnt lgkmcnt(0)
	s_lshl_b32 s8, s8, 3
	v_addc_co_u32_e32 v3, vcc, v5, v3, vcc
	v_mov_b32_e32 v4, s1
	v_add_co_u32_e32 v2, vcc, s0, v2
	s_mul_i32 s0, s19, s8
	s_mul_hi_u32 s1, s18, s8
	s_add_i32 s1, s1, s0
	s_mul_i32 s0, s18, s8
	s_lshl_b64 s[10:11], s[0:1], 3
	v_cmp_neq_f64_e64 s[0:1], s[2:3], 0
	v_addc_co_u32_e32 v3, vcc, v4, v3, vcc
	v_cndmask_b32_e64 v4, 0, 1, s[0:1]
	s_mov_b64 s[4:5], 0
	v_cmp_ne_u32_e64 s[0:1], 1, v4
	v_mov_b32_e32 v6, s9
	v_mov_b32_e32 v7, s11
	s_branch .LBB38_5
.LBB38_3:                               ;   in Loop: Header=BB38_5 Depth=1
	global_load_dwordx2 v[4:5], v[2:3], off
	s_waitcnt vmcnt(0)
	v_mul_f64 v[4:5], s[2:3], v[4:5]
.LBB38_4:                               ;   in Loop: Header=BB38_5 Depth=1
	v_add_co_u32_e32 v0, vcc, s8, v0
	v_addc_co_u32_e32 v1, vcc, v1, v6, vcc
	v_cmp_le_i64_e32 vcc, s[6:7], v[0:1]
	global_store_dwordx2 v[2:3], v[4:5], off
	s_or_b64 s[4:5], vcc, s[4:5]
	v_add_co_u32_e32 v2, vcc, s10, v2
	v_addc_co_u32_e32 v3, vcc, v3, v7, vcc
	s_andn2_b64 exec, exec, s[4:5]
	s_cbranch_execz .LBB38_7
.LBB38_5:                               ; =>This Inner Loop Header: Depth=1
	s_and_b64 vcc, exec, s[0:1]
	s_cbranch_vccz .LBB38_3
; %bb.6:                                ;   in Loop: Header=BB38_5 Depth=1
	v_pk_mov_b32 v[4:5], 0, 0
	s_branch .LBB38_4
.LBB38_7:
	s_endpgm
	.section	.rodata,"a",@progbits
	.p2align	6, 0x0
	.amdhsa_kernel _ZL25rocblas_symm_scale_kernelILi128ELi8EPKdPKPdEviiT1_T2_llli
		.amdhsa_group_segment_fixed_size 0
		.amdhsa_private_segment_fixed_size 0
		.amdhsa_kernarg_size 312
		.amdhsa_user_sgpr_count 6
		.amdhsa_user_sgpr_private_segment_buffer 1
		.amdhsa_user_sgpr_dispatch_ptr 0
		.amdhsa_user_sgpr_queue_ptr 0
		.amdhsa_user_sgpr_kernarg_segment_ptr 1
		.amdhsa_user_sgpr_dispatch_id 0
		.amdhsa_user_sgpr_flat_scratch_init 0
		.amdhsa_user_sgpr_kernarg_preload_length 0
		.amdhsa_user_sgpr_kernarg_preload_offset 0
		.amdhsa_user_sgpr_private_segment_size 0
		.amdhsa_uses_dynamic_stack 0
		.amdhsa_system_sgpr_private_segment_wavefront_offset 0
		.amdhsa_system_sgpr_workgroup_id_x 1
		.amdhsa_system_sgpr_workgroup_id_y 1
		.amdhsa_system_sgpr_workgroup_id_z 1
		.amdhsa_system_sgpr_workgroup_info 0
		.amdhsa_system_vgpr_workitem_id 1
		.amdhsa_next_free_vgpr 8
		.amdhsa_next_free_sgpr 20
		.amdhsa_accum_offset 8
		.amdhsa_reserve_vcc 1
		.amdhsa_reserve_flat_scratch 0
		.amdhsa_float_round_mode_32 0
		.amdhsa_float_round_mode_16_64 0
		.amdhsa_float_denorm_mode_32 3
		.amdhsa_float_denorm_mode_16_64 3
		.amdhsa_dx10_clamp 1
		.amdhsa_ieee_mode 1
		.amdhsa_fp16_overflow 0
		.amdhsa_tg_split 0
		.amdhsa_exception_fp_ieee_invalid_op 0
		.amdhsa_exception_fp_denorm_src 0
		.amdhsa_exception_fp_ieee_div_zero 0
		.amdhsa_exception_fp_ieee_overflow 0
		.amdhsa_exception_fp_ieee_underflow 0
		.amdhsa_exception_fp_ieee_inexact 0
		.amdhsa_exception_int_div_zero 0
	.end_amdhsa_kernel
	.section	.text._ZL25rocblas_symm_scale_kernelILi128ELi8EPKdPKPdEviiT1_T2_llli,"axG",@progbits,_ZL25rocblas_symm_scale_kernelILi128ELi8EPKdPKPdEviiT1_T2_llli,comdat
.Lfunc_end38:
	.size	_ZL25rocblas_symm_scale_kernelILi128ELi8EPKdPKPdEviiT1_T2_llli, .Lfunc_end38-_ZL25rocblas_symm_scale_kernelILi128ELi8EPKdPKPdEviiT1_T2_llli
                                        ; -- End function
	.section	.AMDGPU.csdata,"",@progbits
; Kernel info:
; codeLenInByte = 384
; NumSgprs: 24
; NumVgprs: 8
; NumAgprs: 0
; TotalNumVgprs: 8
; ScratchSize: 0
; MemoryBound: 1
; FloatMode: 240
; IeeeMode: 1
; LDSByteSize: 0 bytes/workgroup (compile time only)
; SGPRBlocks: 2
; VGPRBlocks: 0
; NumSGPRsForWavesPerEU: 24
; NumVGPRsForWavesPerEU: 8
; AccumOffset: 8
; Occupancy: 8
; WaveLimiterHint : 0
; COMPUTE_PGM_RSRC2:SCRATCH_EN: 0
; COMPUTE_PGM_RSRC2:USER_SGPR: 6
; COMPUTE_PGM_RSRC2:TRAP_HANDLER: 0
; COMPUTE_PGM_RSRC2:TGID_X_EN: 1
; COMPUTE_PGM_RSRC2:TGID_Y_EN: 1
; COMPUTE_PGM_RSRC2:TGID_Z_EN: 1
; COMPUTE_PGM_RSRC2:TIDIG_COMP_CNT: 1
; COMPUTE_PGM_RSRC3_GFX90A:ACCUM_OFFSET: 1
; COMPUTE_PGM_RSRC3_GFX90A:TG_SPLIT: 0
	.section	.text._ZL24rocblas_symm_hemm_kernelILb0ELb0ELi32EPKdPKS1_PKPdEvbiiT2_T3_lllS8_lllT4_llli,"axG",@progbits,_ZL24rocblas_symm_hemm_kernelILb0ELb0ELi32EPKdPKS1_PKPdEvbiiT2_T3_lllS8_lllT4_llli,comdat
	.globl	_ZL24rocblas_symm_hemm_kernelILb0ELb0ELi32EPKdPKS1_PKPdEvbiiT2_T3_lllS8_lllT4_llli ; -- Begin function _ZL24rocblas_symm_hemm_kernelILb0ELb0ELi32EPKdPKS1_PKPdEvbiiT2_T3_lllS8_lllT4_llli
	.p2align	8
	.type	_ZL24rocblas_symm_hemm_kernelILb0ELb0ELi32EPKdPKS1_PKPdEvbiiT2_T3_lllS8_lllT4_llli,@function
_ZL24rocblas_symm_hemm_kernelILb0ELb0ELi32EPKdPKS1_PKPdEvbiiT2_T3_lllS8_lllT4_llli: ; @_ZL24rocblas_symm_hemm_kernelILb0ELb0ELi32EPKdPKS1_PKPdEvbiiT2_T3_lllS8_lllT4_llli
; %bb.0:
	s_load_dwordx8 s[12:19], s[4:5], 0x10
	s_waitcnt lgkmcnt(0)
	s_load_dwordx2 s[10:11], s[12:13], 0x0
	s_waitcnt lgkmcnt(0)
	v_cmp_eq_f64_e64 s[0:1], s[10:11], 0
	s_and_b64 vcc, exec, s[0:1]
	s_cbranch_vccnz .LBB39_13
; %bb.1:
	s_load_dwordx4 s[20:23], s[4:5], 0x0
	s_waitcnt lgkmcnt(0)
	s_add_i32 s0, s22, -1
	s_ashr_i32 s1, s0, 31
	s_lshr_b32 s1, s1, 27
	s_add_i32 s0, s0, s1
	s_ashr_i32 s23, s0, 5
	s_cmp_gt_i32 s7, s23
	s_cbranch_scc1 .LBB39_13
; %bb.2:
	s_mov_b32 s9, 0
	s_lshl_b64 s[8:9], s[8:9], 3
	s_add_u32 s14, s14, s8
	s_addc_u32 s15, s15, s9
	s_load_dwordx2 s[24:25], s[14:15], 0x0
	s_load_dwordx4 s[0:3], s[4:5], 0x38
	s_load_dwordx2 s[12:13], s[4:5], 0x48
	s_lshl_b64 s[14:15], s[16:17], 3
	v_and_b32_e32 v10, 0x3ff, v0
	s_waitcnt lgkmcnt(0)
	s_add_u32 s26, s24, s14
	s_addc_u32 s27, s25, s15
	s_add_u32 s0, s0, s8
	s_addc_u32 s1, s1, s9
	s_load_dwordx2 s[16:17], s[0:1], 0x0
	s_load_dwordx4 s[36:39], s[4:5], 0x58
	s_load_dwordx2 s[14:15], s[4:5], 0x68
	s_lshl_b64 s[0:1], s[2:3], 3
	v_bfe_u32 v11, v0, 10, 10
	s_waitcnt lgkmcnt(0)
	s_add_u32 s28, s16, s0
	s_addc_u32 s29, s17, s1
	s_add_u32 s0, s36, s8
	s_addc_u32 s1, s37, s9
	s_load_dwordx2 s[2:3], s[0:1], 0x0
	v_lshl_add_u32 v0, s6, 5, v10
	s_bitcmp1_b32 s20, 0
	v_lshlrev_b32_e32 v1, 3, v11
	v_lshlrev_b32_e32 v12, 8, v10
	s_cselect_b64 s[0:1], -1, 0
	s_lshl_b64 s[8:9], s[38:39], 3
	v_add_u32_e32 v13, v12, v1
	v_or_b32_e32 v14, 0x2000, v1
	v_ashrrev_i32_e32 v1, 31, v0
	s_waitcnt lgkmcnt(0)
	s_add_u32 s6, s2, s8
	v_lshlrev_b64 v[2:3], 3, v[0:1]
	s_addc_u32 s8, s3, s9
	v_add_co_u32_e32 v1, vcc, s6, v2
	s_load_dword s6, s[4:5], 0x84
	s_cmp_gt_i32 s21, 0
	s_cselect_b64 s[4:5], -1, 0
	v_mov_b32_e32 v4, s8
	v_cndmask_b32_e64 v2, 0, 1, s[4:5]
	v_add_u32_e32 v15, v14, v12
	v_cmp_gt_i32_e64 s[2:3], s21, v0
	v_addc_co_u32_e32 v16, vcc, v4, v3, vcc
	v_cmp_ne_u32_e64 s[4:5], 1, v2
	v_add_u32_e32 v17, 0x800, v14
	v_add_u32_e32 v18, 0x1000, v14
	;; [unrolled: 1-line block ×3, first 2 shown]
	s_branch .LBB39_4
.LBB39_3:                               ;   in Loop: Header=BB39_4 Depth=1
	s_waitcnt lgkmcnt(0)
	s_add_i32 s7, s7, s6
	s_cmp_gt_i32 s7, s23
	s_cbranch_scc1 .LBB39_13
.LBB39_4:                               ; =>This Loop Header: Depth=1
                                        ;     Child Loop BB39_7 Depth 2
	s_and_b64 vcc, exec, s[4:5]
	s_cbranch_vccnz .LBB39_3
; %bb.5:                                ;   in Loop: Header=BB39_4 Depth=1
	v_lshl_add_u32 v4, s7, 5, v11
	v_ashrrev_i32_e32 v5, 31, v4
	v_mul_lo_u32 v6, v5, s12
	v_mul_lo_u32 v7, v4, s13
	v_mad_u64_u32 v[2:3], s[8:9], v4, s12, 0
	v_add3_u32 v3, v3, v7, v6
	v_lshlrev_b64 v[2:3], 3, v[2:3]
	v_mov_b32_e32 v6, s29
	v_add_co_u32_e64 v20, s[8:9], s28, v2
	v_addc_co_u32_e64 v21, s[8:9], v6, v3, s[8:9]
	v_mul_lo_u32 v5, v5, s14
	v_mul_lo_u32 v6, v4, s15
	v_mad_u64_u32 v[2:3], s[8:9], v4, s14, 0
	v_add3_u32 v3, v3, v6, v5
	v_lshlrev_b64 v[2:3], 3, v[2:3]
	v_cmp_gt_i32_e32 vcc, s22, v4
	v_add_co_u32_e64 v2, s[8:9], v1, v2
	s_and_b64 s[16:17], s[2:3], vcc
	v_addc_co_u32_e64 v3, s[8:9], v16, v3, s[8:9]
	s_mov_b32 s20, 0
	s_branch .LBB39_7
.LBB39_6:                               ;   in Loop: Header=BB39_7 Depth=2
	s_or_b64 exec, exec, s[8:9]
	s_add_i32 s20, s20, 32
	s_cmp_ge_i32 s20, s21
	s_barrier
	s_cbranch_scc1 .LBB39_3
.LBB39_7:                               ;   Parent Loop BB39_4 Depth=1
                                        ; =>  This Inner Loop Header: Depth=2
	v_add_u32_e32 v4, s20, v11
	v_cndmask_b32_e64 v5, v4, v0, s[0:1]
	v_cndmask_b32_e64 v6, v0, v4, s[0:1]
	v_cmp_gt_i32_e64 s[8:9], v5, v6
	v_cndmask_b32_e64 v6, v0, v4, s[8:9]
	v_cndmask_b32_e64 v7, v4, v0, s[8:9]
	v_max_i32_e32 v4, v6, v7
	v_cmp_gt_i32_e64 s[8:9], s21, v4
	v_pk_mov_b32 v[4:5], 0, 0
	v_pk_mov_b32 v[8:9], v[4:5], v[4:5] op_sel:[0,1]
	s_and_saveexec_b64 s[24:25], s[8:9]
	s_cbranch_execz .LBB39_9
; %bb.8:                                ;   in Loop: Header=BB39_7 Depth=2
	v_ashrrev_i32_e32 v8, 31, v7
	v_mul_lo_u32 v22, v7, s19
	v_mul_lo_u32 v23, v8, s18
	v_mad_u64_u32 v[8:9], s[8:9], v7, s18, 0
	v_add3_u32 v9, v9, v22, v23
	v_lshlrev_b64 v[8:9], 3, v[8:9]
	v_ashrrev_i32_e32 v7, 31, v6
	v_mov_b32_e32 v22, s27
	v_add_co_u32_e64 v8, s[8:9], s26, v8
	v_addc_co_u32_e64 v9, s[8:9], v22, v9, s[8:9]
	v_lshlrev_b64 v[6:7], 3, v[6:7]
	v_add_co_u32_e64 v6, s[8:9], v8, v6
	v_addc_co_u32_e64 v7, s[8:9], v9, v7, s[8:9]
	global_load_dwordx2 v[8:9], v[6:7], off
.LBB39_9:                               ;   in Loop: Header=BB39_7 Depth=2
	s_or_b64 exec, exec, s[24:25]
	v_add_u32_e32 v6, s20, v10
	v_cmp_gt_i32_e64 s[8:9], s21, v6
	s_and_b64 s[8:9], s[8:9], vcc
	s_waitcnt vmcnt(0)
	ds_write_b64 v13, v[8:9]
	s_and_saveexec_b64 s[24:25], s[8:9]
	s_cbranch_execz .LBB39_11
; %bb.10:                               ;   in Loop: Header=BB39_7 Depth=2
	v_ashrrev_i32_e32 v7, 31, v6
	v_lshlrev_b64 v[4:5], 3, v[6:7]
	v_add_co_u32_e64 v4, s[8:9], v20, v4
	v_addc_co_u32_e64 v5, s[8:9], v21, v5, s[8:9]
	global_load_dwordx2 v[4:5], v[4:5], off
.LBB39_11:                              ;   in Loop: Header=BB39_7 Depth=2
	s_or_b64 exec, exec, s[24:25]
	s_waitcnt vmcnt(0)
	ds_write_b64 v15, v[4:5]
	s_waitcnt lgkmcnt(0)
	s_barrier
	s_and_saveexec_b64 s[8:9], s[16:17]
	s_cbranch_execz .LBB39_6
; %bb.12:                               ;   in Loop: Header=BB39_7 Depth=2
	global_load_dwordx2 v[8:9], v[2:3], off
	ds_read2_b64 v[4:7], v14 offset1:32
	ds_read_b128 v[22:25], v12
	ds_read_b128 v[26:29], v12 offset:16
	ds_read2_b64 v[30:33], v14 offset0:64 offset1:96
	ds_read_b128 v[34:37], v12 offset:32
	ds_read_b128 v[38:41], v12 offset:48
	ds_read2_b64 v[42:45], v14 offset0:128 offset1:160
	s_waitcnt lgkmcnt(5)
	v_fma_f64 v[46:47], v[22:23], v[4:5], 0
	v_fmac_f64_e32 v[46:47], v[24:25], v[6:7]
	ds_read2_b64 v[4:7], v14 offset0:192 offset1:224
	s_waitcnt lgkmcnt(4)
	v_fmac_f64_e32 v[46:47], v[26:27], v[30:31]
	v_fmac_f64_e32 v[46:47], v[28:29], v[32:33]
	s_waitcnt lgkmcnt(1)
	v_fmac_f64_e32 v[46:47], v[34:35], v[42:43]
	v_fmac_f64_e32 v[46:47], v[36:37], v[44:45]
	ds_read2_b64 v[22:25], v17 offset1:32
	ds_read_b128 v[26:29], v12 offset:64
	s_waitcnt lgkmcnt(2)
	v_fmac_f64_e32 v[46:47], v[38:39], v[4:5]
	v_fmac_f64_e32 v[46:47], v[40:41], v[6:7]
	ds_read_b128 v[4:7], v12 offset:80
	ds_read2_b64 v[30:33], v17 offset0:64 offset1:96
	s_waitcnt lgkmcnt(2)
	v_fmac_f64_e32 v[46:47], v[26:27], v[22:23]
	v_fmac_f64_e32 v[46:47], v[28:29], v[24:25]
	ds_read2_b64 v[22:25], v17 offset0:128 offset1:160
	ds_read_b128 v[26:29], v12 offset:96
	s_waitcnt lgkmcnt(2)
	v_fmac_f64_e32 v[46:47], v[4:5], v[30:31]
	v_fmac_f64_e32 v[46:47], v[6:7], v[32:33]
	ds_read_b128 v[4:7], v12 offset:112
	ds_read2_b64 v[30:33], v17 offset0:192 offset1:224
	s_waitcnt lgkmcnt(2)
	v_fmac_f64_e32 v[46:47], v[26:27], v[22:23]
	v_fmac_f64_e32 v[46:47], v[28:29], v[24:25]
	ds_read2_b64 v[22:25], v18 offset1:32
	ds_read_b128 v[26:29], v12 offset:128
	s_waitcnt lgkmcnt(2)
	v_fmac_f64_e32 v[46:47], v[4:5], v[30:31]
	v_fmac_f64_e32 v[46:47], v[6:7], v[32:33]
	ds_read_b128 v[4:7], v12 offset:144
	ds_read2_b64 v[30:33], v18 offset0:64 offset1:96
	s_waitcnt lgkmcnt(2)
	v_fmac_f64_e32 v[46:47], v[26:27], v[22:23]
	v_fmac_f64_e32 v[46:47], v[28:29], v[24:25]
	ds_read2_b64 v[22:25], v18 offset0:128 offset1:160
	ds_read_b128 v[26:29], v12 offset:160
	s_waitcnt lgkmcnt(2)
	v_fmac_f64_e32 v[46:47], v[4:5], v[30:31]
	v_fmac_f64_e32 v[46:47], v[6:7], v[32:33]
	ds_read_b128 v[4:7], v12 offset:176
	ds_read2_b64 v[30:33], v18 offset0:192 offset1:224
	ds_read2_b64 v[34:37], v19 offset1:32
	ds_read_b128 v[38:41], v12 offset:192
	s_waitcnt lgkmcnt(4)
	v_fmac_f64_e32 v[46:47], v[26:27], v[22:23]
	v_fmac_f64_e32 v[46:47], v[28:29], v[24:25]
	s_waitcnt lgkmcnt(2)
	v_fmac_f64_e32 v[46:47], v[4:5], v[30:31]
	v_fmac_f64_e32 v[46:47], v[6:7], v[32:33]
	ds_read_b128 v[4:7], v12 offset:208
	s_waitcnt lgkmcnt(1)
	v_fmac_f64_e32 v[46:47], v[38:39], v[34:35]
	v_fmac_f64_e32 v[46:47], v[40:41], v[36:37]
	ds_read2_b64 v[22:25], v19 offset0:64 offset1:96
	ds_read2_b64 v[26:29], v19 offset0:128 offset1:160
	ds_read_b128 v[30:33], v12 offset:224
	ds_read_b128 v[34:37], v12 offset:240
	ds_read2_b64 v[38:41], v19 offset0:192 offset1:224
	s_waitcnt lgkmcnt(4)
	v_fmac_f64_e32 v[46:47], v[4:5], v[22:23]
	v_fmac_f64_e32 v[46:47], v[6:7], v[24:25]
	s_waitcnt lgkmcnt(2)
	v_fmac_f64_e32 v[46:47], v[30:31], v[26:27]
	v_fmac_f64_e32 v[46:47], v[32:33], v[28:29]
	;; [unrolled: 3-line block ×3, first 2 shown]
	s_waitcnt vmcnt(0)
	v_fmac_f64_e32 v[8:9], s[10:11], v[46:47]
	global_store_dwordx2 v[2:3], v[8:9], off
	s_branch .LBB39_6
.LBB39_13:
	s_endpgm
	.section	.rodata,"a",@progbits
	.p2align	6, 0x0
	.amdhsa_kernel _ZL24rocblas_symm_hemm_kernelILb0ELb0ELi32EPKdPKS1_PKPdEvbiiT2_T3_lllS8_lllT4_llli
		.amdhsa_group_segment_fixed_size 16384
		.amdhsa_private_segment_fixed_size 0
		.amdhsa_kernarg_size 384
		.amdhsa_user_sgpr_count 6
		.amdhsa_user_sgpr_private_segment_buffer 1
		.amdhsa_user_sgpr_dispatch_ptr 0
		.amdhsa_user_sgpr_queue_ptr 0
		.amdhsa_user_sgpr_kernarg_segment_ptr 1
		.amdhsa_user_sgpr_dispatch_id 0
		.amdhsa_user_sgpr_flat_scratch_init 0
		.amdhsa_user_sgpr_kernarg_preload_length 0
		.amdhsa_user_sgpr_kernarg_preload_offset 0
		.amdhsa_user_sgpr_private_segment_size 0
		.amdhsa_uses_dynamic_stack 0
		.amdhsa_system_sgpr_private_segment_wavefront_offset 0
		.amdhsa_system_sgpr_workgroup_id_x 1
		.amdhsa_system_sgpr_workgroup_id_y 1
		.amdhsa_system_sgpr_workgroup_id_z 1
		.amdhsa_system_sgpr_workgroup_info 0
		.amdhsa_system_vgpr_workitem_id 1
		.amdhsa_next_free_vgpr 48
		.amdhsa_next_free_sgpr 40
		.amdhsa_accum_offset 48
		.amdhsa_reserve_vcc 1
		.amdhsa_reserve_flat_scratch 0
		.amdhsa_float_round_mode_32 0
		.amdhsa_float_round_mode_16_64 0
		.amdhsa_float_denorm_mode_32 3
		.amdhsa_float_denorm_mode_16_64 3
		.amdhsa_dx10_clamp 1
		.amdhsa_ieee_mode 1
		.amdhsa_fp16_overflow 0
		.amdhsa_tg_split 0
		.amdhsa_exception_fp_ieee_invalid_op 0
		.amdhsa_exception_fp_denorm_src 0
		.amdhsa_exception_fp_ieee_div_zero 0
		.amdhsa_exception_fp_ieee_overflow 0
		.amdhsa_exception_fp_ieee_underflow 0
		.amdhsa_exception_fp_ieee_inexact 0
		.amdhsa_exception_int_div_zero 0
	.end_amdhsa_kernel
	.section	.text._ZL24rocblas_symm_hemm_kernelILb0ELb0ELi32EPKdPKS1_PKPdEvbiiT2_T3_lllS8_lllT4_llli,"axG",@progbits,_ZL24rocblas_symm_hemm_kernelILb0ELb0ELi32EPKdPKS1_PKPdEvbiiT2_T3_lllS8_lllT4_llli,comdat
.Lfunc_end39:
	.size	_ZL24rocblas_symm_hemm_kernelILb0ELb0ELi32EPKdPKS1_PKPdEvbiiT2_T3_lllS8_lllT4_llli, .Lfunc_end39-_ZL24rocblas_symm_hemm_kernelILb0ELb0ELi32EPKdPKS1_PKPdEvbiiT2_T3_lllS8_lllT4_llli
                                        ; -- End function
	.section	.AMDGPU.csdata,"",@progbits
; Kernel info:
; codeLenInByte = 1324
; NumSgprs: 44
; NumVgprs: 48
; NumAgprs: 0
; TotalNumVgprs: 48
; ScratchSize: 0
; MemoryBound: 0
; FloatMode: 240
; IeeeMode: 1
; LDSByteSize: 16384 bytes/workgroup (compile time only)
; SGPRBlocks: 5
; VGPRBlocks: 5
; NumSGPRsForWavesPerEU: 44
; NumVGPRsForWavesPerEU: 48
; AccumOffset: 48
; Occupancy: 8
; WaveLimiterHint : 1
; COMPUTE_PGM_RSRC2:SCRATCH_EN: 0
; COMPUTE_PGM_RSRC2:USER_SGPR: 6
; COMPUTE_PGM_RSRC2:TRAP_HANDLER: 0
; COMPUTE_PGM_RSRC2:TGID_X_EN: 1
; COMPUTE_PGM_RSRC2:TGID_Y_EN: 1
; COMPUTE_PGM_RSRC2:TGID_Z_EN: 1
; COMPUTE_PGM_RSRC2:TIDIG_COMP_CNT: 1
; COMPUTE_PGM_RSRC3_GFX90A:ACCUM_OFFSET: 11
; COMPUTE_PGM_RSRC3_GFX90A:TG_SPLIT: 0
	.section	.text._ZL24rocblas_symm_hemm_kernelILb0ELb1ELi32EPKdPKS1_PKPdEvbiiT2_T3_lllS8_lllT4_llli,"axG",@progbits,_ZL24rocblas_symm_hemm_kernelILb0ELb1ELi32EPKdPKS1_PKPdEvbiiT2_T3_lllS8_lllT4_llli,comdat
	.globl	_ZL24rocblas_symm_hemm_kernelILb0ELb1ELi32EPKdPKS1_PKPdEvbiiT2_T3_lllS8_lllT4_llli ; -- Begin function _ZL24rocblas_symm_hemm_kernelILb0ELb1ELi32EPKdPKS1_PKPdEvbiiT2_T3_lllS8_lllT4_llli
	.p2align	8
	.type	_ZL24rocblas_symm_hemm_kernelILb0ELb1ELi32EPKdPKS1_PKPdEvbiiT2_T3_lllS8_lllT4_llli,@function
_ZL24rocblas_symm_hemm_kernelILb0ELb1ELi32EPKdPKS1_PKPdEvbiiT2_T3_lllS8_lllT4_llli: ; @_ZL24rocblas_symm_hemm_kernelILb0ELb1ELi32EPKdPKS1_PKPdEvbiiT2_T3_lllS8_lllT4_llli
; %bb.0:
	s_load_dwordx8 s[12:19], s[4:5], 0x10
	s_waitcnt lgkmcnt(0)
	s_load_dwordx2 s[10:11], s[12:13], 0x0
	s_waitcnt lgkmcnt(0)
	v_cmp_eq_f64_e64 s[0:1], s[10:11], 0
	s_and_b64 vcc, exec, s[0:1]
	s_cbranch_vccnz .LBB40_13
; %bb.1:
	s_load_dwordx4 s[20:23], s[4:5], 0x0
	s_waitcnt lgkmcnt(0)
	s_add_i32 s0, s22, -1
	s_ashr_i32 s1, s0, 31
	s_lshr_b32 s1, s1, 27
	s_add_i32 s0, s0, s1
	s_ashr_i32 s23, s0, 5
	s_cmp_gt_i32 s7, s23
	s_cbranch_scc1 .LBB40_13
; %bb.2:
	s_mov_b32 s9, 0
	s_lshl_b64 s[26:27], s[8:9], 3
	s_add_u32 s14, s14, s26
	s_addc_u32 s15, s15, s27
	s_load_dwordx2 s[24:25], s[14:15], 0x0
	s_load_dwordx4 s[0:3], s[4:5], 0x38
	s_load_dwordx2 s[8:9], s[4:5], 0x48
	s_load_dwordx4 s[28:31], s[4:5], 0x58
	s_load_dwordx2 s[12:13], s[4:5], 0x68
	s_lshl_b64 s[14:15], s[16:17], 3
	s_waitcnt lgkmcnt(0)
	s_add_u32 s24, s24, s14
	s_addc_u32 s25, s25, s15
	s_add_u32 s0, s0, s26
	s_addc_u32 s1, s1, s27
	;; [unrolled: 2-line block ×3, first 2 shown]
	s_load_dwordx2 s[16:17], s[14:15], 0x0
	s_load_dwordx2 s[26:27], s[0:1], 0x0
	s_bitcmp1_b32 s20, 0
	s_cselect_b64 s[0:1], -1, 0
	s_lshl_b64 s[14:15], s[30:31], 3
	s_waitcnt lgkmcnt(0)
	s_add_u32 s14, s16, s14
	v_and_b32_e32 v6, 0x3ff, v0
	s_addc_u32 s15, s17, s15
	s_lshl_b64 s[2:3], s[2:3], 3
	v_lshl_add_u32 v2, s6, 5, v6
	s_add_u32 s16, s26, s2
	v_ashrrev_i32_e32 v3, 31, v2
	s_addc_u32 s17, s27, s3
	v_bfe_u32 v7, v0, 10, 10
	v_lshlrev_b64 v[0:1], 3, v[2:3]
	s_load_dword s6, s[4:5], 0x84
	s_cmp_gt_i32 s22, 0
	v_cmp_gt_i32_e64 s[2:3], s21, v2
	v_mov_b32_e32 v2, s17
	v_add_co_u32_e32 v8, vcc, s16, v0
	v_addc_co_u32_e32 v9, vcc, v2, v1, vcc
	v_lshlrev_b32_e32 v2, 3, v7
	v_lshlrev_b32_e32 v10, 8, v6
	s_cselect_b64 s[4:5], -1, 0
	v_add_u32_e32 v11, v10, v2
	v_or_b32_e32 v12, 0x2000, v2
	v_mov_b32_e32 v2, s15
	v_add_co_u32_e32 v14, vcc, s14, v0
	v_cndmask_b32_e64 v0, 0, 1, s[4:5]
	v_add_u32_e32 v13, v12, v10
	v_addc_co_u32_e32 v15, vcc, v2, v1, vcc
	v_cmp_ne_u32_e64 s[4:5], 1, v0
	v_add_u32_e32 v16, 0x800, v12
	v_add_u32_e32 v17, 0x1000, v12
	;; [unrolled: 1-line block ×3, first 2 shown]
	s_branch .LBB40_4
.LBB40_3:                               ;   in Loop: Header=BB40_4 Depth=1
	s_waitcnt lgkmcnt(0)
	s_add_i32 s7, s7, s6
	s_cmp_gt_i32 s7, s23
	s_cbranch_scc1 .LBB40_13
.LBB40_4:                               ; =>This Loop Header: Depth=1
                                        ;     Child Loop BB40_7 Depth 2
	s_and_b64 vcc, exec, s[4:5]
	s_cbranch_vccnz .LBB40_3
; %bb.5:                                ;   in Loop: Header=BB40_4 Depth=1
	v_lshl_add_u32 v19, s7, 5, v7
	v_ashrrev_i32_e32 v0, 31, v19
	v_mul_lo_u32 v2, v0, s12
	v_mul_lo_u32 v3, v19, s13
	v_mad_u64_u32 v[0:1], s[16:17], v19, s12, 0
	v_add3_u32 v1, v1, v3, v2
	v_cmp_gt_i32_e32 vcc, s22, v19
	v_lshlrev_b64 v[0:1], 3, v[0:1]
	s_and_b64 s[14:15], s[2:3], vcc
	v_add_co_u32_e32 v0, vcc, v14, v0
	v_addc_co_u32_e32 v1, vcc, v15, v1, vcc
	s_mov_b32 s20, 0
	s_branch .LBB40_7
.LBB40_6:                               ;   in Loop: Header=BB40_7 Depth=2
	s_or_b64 exec, exec, s[16:17]
	s_add_i32 s20, s20, 32
	s_cmp_ge_i32 s20, s22
	s_barrier
	s_cbranch_scc1 .LBB40_3
.LBB40_7:                               ;   Parent Loop BB40_4 Depth=1
                                        ; =>  This Inner Loop Header: Depth=2
	v_add_u32_e32 v20, s20, v7
	v_cmp_gt_i32_e32 vcc, s22, v20
	v_pk_mov_b32 v[2:3], 0, 0
	s_and_b64 s[26:27], s[2:3], vcc
	v_pk_mov_b32 v[4:5], v[2:3], v[2:3] op_sel:[0,1]
	s_and_saveexec_b64 s[16:17], s[26:27]
	s_cbranch_execz .LBB40_9
; %bb.8:                                ;   in Loop: Header=BB40_7 Depth=2
	v_ashrrev_i32_e32 v4, 31, v20
	v_mul_lo_u32 v21, v20, s9
	v_mul_lo_u32 v22, v4, s8
	v_mad_u64_u32 v[4:5], s[26:27], v20, s8, 0
	v_add3_u32 v5, v5, v21, v22
	v_lshlrev_b64 v[4:5], 3, v[4:5]
	v_add_co_u32_e32 v4, vcc, v8, v4
	v_addc_co_u32_e32 v5, vcc, v9, v5, vcc
	global_load_dwordx2 v[4:5], v[4:5], off
.LBB40_9:                               ;   in Loop: Header=BB40_7 Depth=2
	s_or_b64 exec, exec, s[16:17]
	s_waitcnt vmcnt(0)
	ds_write_b64 v11, v[4:5]
	v_add_u32_e32 v5, s20, v6
	v_cndmask_b32_e64 v4, v19, v5, s[0:1]
	v_cndmask_b32_e64 v20, v5, v19, s[0:1]
	v_cmp_gt_i32_e32 vcc, v4, v20
	v_cndmask_b32_e32 v4, v5, v19, vcc
	v_cndmask_b32_e32 v5, v19, v5, vcc
	v_max_i32_e32 v20, v4, v5
	v_cmp_gt_i32_e32 vcc, s22, v20
	s_and_saveexec_b64 s[16:17], vcc
	s_cbranch_execz .LBB40_11
; %bb.10:                               ;   in Loop: Header=BB40_7 Depth=2
	v_ashrrev_i32_e32 v2, 31, v5
	v_mul_lo_u32 v20, v5, s19
	v_mul_lo_u32 v21, v2, s18
	v_mad_u64_u32 v[2:3], s[26:27], v5, s18, 0
	v_add3_u32 v3, v3, v20, v21
	v_lshlrev_b64 v[2:3], 3, v[2:3]
	v_ashrrev_i32_e32 v5, 31, v4
	v_mov_b32_e32 v20, s25
	v_add_co_u32_e32 v21, vcc, s24, v2
	v_addc_co_u32_e32 v20, vcc, v20, v3, vcc
	v_lshlrev_b64 v[2:3], 3, v[4:5]
	v_add_co_u32_e32 v2, vcc, v21, v2
	v_addc_co_u32_e32 v3, vcc, v20, v3, vcc
	global_load_dwordx2 v[2:3], v[2:3], off
.LBB40_11:                              ;   in Loop: Header=BB40_7 Depth=2
	s_or_b64 exec, exec, s[16:17]
	s_waitcnt vmcnt(0)
	ds_write_b64 v13, v[2:3]
	s_waitcnt lgkmcnt(0)
	s_barrier
	s_and_saveexec_b64 s[16:17], s[14:15]
	s_cbranch_execz .LBB40_6
; %bb.12:                               ;   in Loop: Header=BB40_7 Depth=2
	global_load_dwordx2 v[44:45], v[0:1], off
	ds_read2_b64 v[2:5], v12 offset1:32
	ds_read_b128 v[20:23], v10
	ds_read_b128 v[24:27], v10 offset:16
	ds_read2_b64 v[28:31], v12 offset0:64 offset1:96
	ds_read_b128 v[32:35], v10 offset:32
	ds_read_b128 v[36:39], v10 offset:48
	ds_read2_b64 v[40:43], v12 offset0:128 offset1:160
	s_waitcnt lgkmcnt(5)
	v_fma_f64 v[46:47], v[20:21], v[2:3], 0
	v_fmac_f64_e32 v[46:47], v[22:23], v[4:5]
	ds_read2_b64 v[2:5], v12 offset0:192 offset1:224
	s_waitcnt lgkmcnt(4)
	v_fmac_f64_e32 v[46:47], v[24:25], v[28:29]
	v_fmac_f64_e32 v[46:47], v[26:27], v[30:31]
	s_waitcnt lgkmcnt(1)
	v_fmac_f64_e32 v[46:47], v[32:33], v[40:41]
	v_fmac_f64_e32 v[46:47], v[34:35], v[42:43]
	ds_read2_b64 v[20:23], v16 offset1:32
	ds_read_b128 v[24:27], v10 offset:64
	s_waitcnt lgkmcnt(2)
	v_fmac_f64_e32 v[46:47], v[36:37], v[2:3]
	v_fmac_f64_e32 v[46:47], v[38:39], v[4:5]
	ds_read_b128 v[2:5], v10 offset:80
	ds_read2_b64 v[28:31], v16 offset0:64 offset1:96
	s_waitcnt lgkmcnt(2)
	v_fmac_f64_e32 v[46:47], v[24:25], v[20:21]
	v_fmac_f64_e32 v[46:47], v[26:27], v[22:23]
	ds_read2_b64 v[20:23], v16 offset0:128 offset1:160
	ds_read_b128 v[24:27], v10 offset:96
	s_waitcnt lgkmcnt(2)
	v_fmac_f64_e32 v[46:47], v[2:3], v[28:29]
	v_fmac_f64_e32 v[46:47], v[4:5], v[30:31]
	ds_read_b128 v[2:5], v10 offset:112
	ds_read2_b64 v[28:31], v16 offset0:192 offset1:224
	s_waitcnt lgkmcnt(2)
	v_fmac_f64_e32 v[46:47], v[24:25], v[20:21]
	v_fmac_f64_e32 v[46:47], v[26:27], v[22:23]
	ds_read2_b64 v[20:23], v17 offset1:32
	ds_read_b128 v[24:27], v10 offset:128
	s_waitcnt lgkmcnt(2)
	v_fmac_f64_e32 v[46:47], v[2:3], v[28:29]
	v_fmac_f64_e32 v[46:47], v[4:5], v[30:31]
	ds_read_b128 v[2:5], v10 offset:144
	ds_read2_b64 v[28:31], v17 offset0:64 offset1:96
	s_waitcnt lgkmcnt(2)
	v_fmac_f64_e32 v[46:47], v[24:25], v[20:21]
	v_fmac_f64_e32 v[46:47], v[26:27], v[22:23]
	ds_read2_b64 v[20:23], v17 offset0:128 offset1:160
	ds_read_b128 v[24:27], v10 offset:160
	s_waitcnt lgkmcnt(2)
	v_fmac_f64_e32 v[46:47], v[2:3], v[28:29]
	v_fmac_f64_e32 v[46:47], v[4:5], v[30:31]
	ds_read_b128 v[2:5], v10 offset:176
	ds_read2_b64 v[28:31], v17 offset0:192 offset1:224
	ds_read2_b64 v[32:35], v18 offset1:32
	ds_read_b128 v[36:39], v10 offset:192
	s_waitcnt lgkmcnt(4)
	v_fmac_f64_e32 v[46:47], v[24:25], v[20:21]
	v_fmac_f64_e32 v[46:47], v[26:27], v[22:23]
	s_waitcnt lgkmcnt(2)
	v_fmac_f64_e32 v[46:47], v[2:3], v[28:29]
	v_fmac_f64_e32 v[46:47], v[4:5], v[30:31]
	ds_read_b128 v[2:5], v10 offset:208
	s_waitcnt lgkmcnt(1)
	v_fmac_f64_e32 v[46:47], v[36:37], v[32:33]
	v_fmac_f64_e32 v[46:47], v[38:39], v[34:35]
	ds_read2_b64 v[20:23], v18 offset0:64 offset1:96
	ds_read2_b64 v[24:27], v18 offset0:128 offset1:160
	ds_read_b128 v[28:31], v10 offset:224
	ds_read_b128 v[32:35], v10 offset:240
	ds_read2_b64 v[36:39], v18 offset0:192 offset1:224
	s_waitcnt lgkmcnt(4)
	v_fmac_f64_e32 v[46:47], v[2:3], v[20:21]
	v_fmac_f64_e32 v[46:47], v[4:5], v[22:23]
	s_waitcnt lgkmcnt(2)
	v_fmac_f64_e32 v[46:47], v[28:29], v[24:25]
	v_fmac_f64_e32 v[46:47], v[30:31], v[26:27]
	;; [unrolled: 3-line block ×3, first 2 shown]
	s_waitcnt vmcnt(0)
	v_fmac_f64_e32 v[44:45], s[10:11], v[46:47]
	global_store_dwordx2 v[0:1], v[44:45], off
	s_branch .LBB40_6
.LBB40_13:
	s_endpgm
	.section	.rodata,"a",@progbits
	.p2align	6, 0x0
	.amdhsa_kernel _ZL24rocblas_symm_hemm_kernelILb0ELb1ELi32EPKdPKS1_PKPdEvbiiT2_T3_lllS8_lllT4_llli
		.amdhsa_group_segment_fixed_size 16384
		.amdhsa_private_segment_fixed_size 0
		.amdhsa_kernarg_size 384
		.amdhsa_user_sgpr_count 6
		.amdhsa_user_sgpr_private_segment_buffer 1
		.amdhsa_user_sgpr_dispatch_ptr 0
		.amdhsa_user_sgpr_queue_ptr 0
		.amdhsa_user_sgpr_kernarg_segment_ptr 1
		.amdhsa_user_sgpr_dispatch_id 0
		.amdhsa_user_sgpr_flat_scratch_init 0
		.amdhsa_user_sgpr_kernarg_preload_length 0
		.amdhsa_user_sgpr_kernarg_preload_offset 0
		.amdhsa_user_sgpr_private_segment_size 0
		.amdhsa_uses_dynamic_stack 0
		.amdhsa_system_sgpr_private_segment_wavefront_offset 0
		.amdhsa_system_sgpr_workgroup_id_x 1
		.amdhsa_system_sgpr_workgroup_id_y 1
		.amdhsa_system_sgpr_workgroup_id_z 1
		.amdhsa_system_sgpr_workgroup_info 0
		.amdhsa_system_vgpr_workitem_id 1
		.amdhsa_next_free_vgpr 48
		.amdhsa_next_free_sgpr 32
		.amdhsa_accum_offset 48
		.amdhsa_reserve_vcc 1
		.amdhsa_reserve_flat_scratch 0
		.amdhsa_float_round_mode_32 0
		.amdhsa_float_round_mode_16_64 0
		.amdhsa_float_denorm_mode_32 3
		.amdhsa_float_denorm_mode_16_64 3
		.amdhsa_dx10_clamp 1
		.amdhsa_ieee_mode 1
		.amdhsa_fp16_overflow 0
		.amdhsa_tg_split 0
		.amdhsa_exception_fp_ieee_invalid_op 0
		.amdhsa_exception_fp_denorm_src 0
		.amdhsa_exception_fp_ieee_div_zero 0
		.amdhsa_exception_fp_ieee_overflow 0
		.amdhsa_exception_fp_ieee_underflow 0
		.amdhsa_exception_fp_ieee_inexact 0
		.amdhsa_exception_int_div_zero 0
	.end_amdhsa_kernel
	.section	.text._ZL24rocblas_symm_hemm_kernelILb0ELb1ELi32EPKdPKS1_PKPdEvbiiT2_T3_lllS8_lllT4_llli,"axG",@progbits,_ZL24rocblas_symm_hemm_kernelILb0ELb1ELi32EPKdPKS1_PKPdEvbiiT2_T3_lllS8_lllT4_llli,comdat
.Lfunc_end40:
	.size	_ZL24rocblas_symm_hemm_kernelILb0ELb1ELi32EPKdPKS1_PKPdEvbiiT2_T3_lllS8_lllT4_llli, .Lfunc_end40-_ZL24rocblas_symm_hemm_kernelILb0ELb1ELi32EPKdPKS1_PKPdEvbiiT2_T3_lllS8_lllT4_llli
                                        ; -- End function
	.section	.AMDGPU.csdata,"",@progbits
; Kernel info:
; codeLenInByte = 1252
; NumSgprs: 36
; NumVgprs: 48
; NumAgprs: 0
; TotalNumVgprs: 48
; ScratchSize: 0
; MemoryBound: 0
; FloatMode: 240
; IeeeMode: 1
; LDSByteSize: 16384 bytes/workgroup (compile time only)
; SGPRBlocks: 4
; VGPRBlocks: 5
; NumSGPRsForWavesPerEU: 36
; NumVGPRsForWavesPerEU: 48
; AccumOffset: 48
; Occupancy: 8
; WaveLimiterHint : 1
; COMPUTE_PGM_RSRC2:SCRATCH_EN: 0
; COMPUTE_PGM_RSRC2:USER_SGPR: 6
; COMPUTE_PGM_RSRC2:TRAP_HANDLER: 0
; COMPUTE_PGM_RSRC2:TGID_X_EN: 1
; COMPUTE_PGM_RSRC2:TGID_Y_EN: 1
; COMPUTE_PGM_RSRC2:TGID_Z_EN: 1
; COMPUTE_PGM_RSRC2:TIDIG_COMP_CNT: 1
; COMPUTE_PGM_RSRC3_GFX90A:ACCUM_OFFSET: 11
; COMPUTE_PGM_RSRC3_GFX90A:TG_SPLIT: 0
	.section	.text._ZL25rocblas_symm_scale_kernelILi128ELi8EdPKPdEviiT1_T2_llli,"axG",@progbits,_ZL25rocblas_symm_scale_kernelILi128ELi8EdPKPdEviiT1_T2_llli,comdat
	.globl	_ZL25rocblas_symm_scale_kernelILi128ELi8EdPKPdEviiT1_T2_llli ; -- Begin function _ZL25rocblas_symm_scale_kernelILi128ELi8EdPKPdEviiT1_T2_llli
	.p2align	8
	.type	_ZL25rocblas_symm_scale_kernelILi128ELi8EdPKPdEviiT1_T2_llli,@function
_ZL25rocblas_symm_scale_kernelILi128ELi8EdPKPdEviiT1_T2_llli: ; @_ZL25rocblas_symm_scale_kernelILi128ELi8EdPKPdEviiT1_T2_llli
; %bb.0:
	s_load_dwordx8 s[12:19], s[4:5], 0x8
	s_waitcnt lgkmcnt(0)
	v_cmp_eq_f64_e64 s[0:1], s[12:13], 1.0
	s_and_b64 vcc, exec, s[0:1]
	s_cbranch_vccnz .LBB41_7
; %bb.1:
	s_load_dwordx2 s[0:1], s[4:5], 0x0
	v_and_b32_e32 v1, 0x3ff, v0
	v_bfe_u32 v0, v0, 10, 10
	v_lshl_add_u32 v2, s6, 7, v1
	v_lshl_add_u32 v0, s7, 3, v0
	v_mov_b32_e32 v1, 0
	s_waitcnt lgkmcnt(0)
	s_ashr_i32 s3, s1, 31
	s_mov_b32 s2, s1
	v_cmp_gt_u32_e32 vcc, s0, v2
	v_cmp_gt_i64_e64 s[0:1], s[2:3], v[0:1]
	s_and_b64 s[0:1], vcc, s[0:1]
	s_and_saveexec_b64 s[6:7], s[0:1]
	s_cbranch_execz .LBB41_7
; %bb.2:
	s_load_dword s6, s[4:5], 0x3c
	s_mov_b32 s9, 0
	s_lshl_b64 s[0:1], s[8:9], 3
	s_add_u32 s0, s14, s0
	s_addc_u32 s1, s15, s1
	s_waitcnt lgkmcnt(0)
	s_lshl_b32 s8, s6, 3
	v_mad_u64_u32 v[4:5], s[6:7], s18, v0, 0
	v_mov_b32_e32 v6, v5
	v_mad_u64_u32 v[6:7], s[6:7], s19, v0, v[6:7]
	v_mov_b32_e32 v5, v6
	s_load_dwordx2 s[0:1], s[0:1], 0x0
	v_lshlrev_b64 v[4:5], 3, v[4:5]
	s_lshl_b64 s[6:7], s[16:17], 3
	v_mov_b32_e32 v3, v1
	v_mov_b32_e32 v6, s7
	v_add_co_u32_e32 v4, vcc, s6, v4
	v_addc_co_u32_e32 v5, vcc, v5, v6, vcc
	v_lshlrev_b64 v[2:3], 3, v[2:3]
	v_add_co_u32_e32 v2, vcc, v4, v2
	v_addc_co_u32_e32 v3, vcc, v5, v3, vcc
	s_waitcnt lgkmcnt(0)
	v_mov_b32_e32 v4, s1
	v_add_co_u32_e32 v2, vcc, s0, v2
	s_mul_i32 s0, s19, s8
	s_mul_hi_u32 s1, s18, s8
	s_add_i32 s1, s1, s0
	s_mul_i32 s0, s18, s8
	s_lshl_b64 s[6:7], s[0:1], 3
	v_cmp_neq_f64_e64 s[0:1], s[12:13], 0
	v_addc_co_u32_e32 v3, vcc, v4, v3, vcc
	v_cndmask_b32_e64 v4, 0, 1, s[0:1]
	s_mov_b64 s[4:5], 0
	v_cmp_ne_u32_e64 s[0:1], 1, v4
	v_mov_b32_e32 v6, s9
	v_mov_b32_e32 v7, s7
	s_branch .LBB41_5
.LBB41_3:                               ;   in Loop: Header=BB41_5 Depth=1
	global_load_dwordx2 v[4:5], v[2:3], off
	s_waitcnt vmcnt(0)
	v_mul_f64 v[4:5], v[4:5], s[12:13]
.LBB41_4:                               ;   in Loop: Header=BB41_5 Depth=1
	v_add_co_u32_e32 v0, vcc, s8, v0
	v_addc_co_u32_e32 v1, vcc, v1, v6, vcc
	v_cmp_le_i64_e32 vcc, s[2:3], v[0:1]
	global_store_dwordx2 v[2:3], v[4:5], off
	s_or_b64 s[4:5], vcc, s[4:5]
	v_add_co_u32_e32 v2, vcc, s6, v2
	v_addc_co_u32_e32 v3, vcc, v3, v7, vcc
	s_andn2_b64 exec, exec, s[4:5]
	s_cbranch_execz .LBB41_7
.LBB41_5:                               ; =>This Inner Loop Header: Depth=1
	s_and_b64 vcc, exec, s[0:1]
	s_cbranch_vccz .LBB41_3
; %bb.6:                                ;   in Loop: Header=BB41_5 Depth=1
	v_pk_mov_b32 v[4:5], 0, 0
	s_branch .LBB41_4
.LBB41_7:
	s_endpgm
	.section	.rodata,"a",@progbits
	.p2align	6, 0x0
	.amdhsa_kernel _ZL25rocblas_symm_scale_kernelILi128ELi8EdPKPdEviiT1_T2_llli
		.amdhsa_group_segment_fixed_size 0
		.amdhsa_private_segment_fixed_size 0
		.amdhsa_kernarg_size 312
		.amdhsa_user_sgpr_count 6
		.amdhsa_user_sgpr_private_segment_buffer 1
		.amdhsa_user_sgpr_dispatch_ptr 0
		.amdhsa_user_sgpr_queue_ptr 0
		.amdhsa_user_sgpr_kernarg_segment_ptr 1
		.amdhsa_user_sgpr_dispatch_id 0
		.amdhsa_user_sgpr_flat_scratch_init 0
		.amdhsa_user_sgpr_kernarg_preload_length 0
		.amdhsa_user_sgpr_kernarg_preload_offset 0
		.amdhsa_user_sgpr_private_segment_size 0
		.amdhsa_uses_dynamic_stack 0
		.amdhsa_system_sgpr_private_segment_wavefront_offset 0
		.amdhsa_system_sgpr_workgroup_id_x 1
		.amdhsa_system_sgpr_workgroup_id_y 1
		.amdhsa_system_sgpr_workgroup_id_z 1
		.amdhsa_system_sgpr_workgroup_info 0
		.amdhsa_system_vgpr_workitem_id 1
		.amdhsa_next_free_vgpr 8
		.amdhsa_next_free_sgpr 20
		.amdhsa_accum_offset 8
		.amdhsa_reserve_vcc 1
		.amdhsa_reserve_flat_scratch 0
		.amdhsa_float_round_mode_32 0
		.amdhsa_float_round_mode_16_64 0
		.amdhsa_float_denorm_mode_32 3
		.amdhsa_float_denorm_mode_16_64 3
		.amdhsa_dx10_clamp 1
		.amdhsa_ieee_mode 1
		.amdhsa_fp16_overflow 0
		.amdhsa_tg_split 0
		.amdhsa_exception_fp_ieee_invalid_op 0
		.amdhsa_exception_fp_denorm_src 0
		.amdhsa_exception_fp_ieee_div_zero 0
		.amdhsa_exception_fp_ieee_overflow 0
		.amdhsa_exception_fp_ieee_underflow 0
		.amdhsa_exception_fp_ieee_inexact 0
		.amdhsa_exception_int_div_zero 0
	.end_amdhsa_kernel
	.section	.text._ZL25rocblas_symm_scale_kernelILi128ELi8EdPKPdEviiT1_T2_llli,"axG",@progbits,_ZL25rocblas_symm_scale_kernelILi128ELi8EdPKPdEviiT1_T2_llli,comdat
.Lfunc_end41:
	.size	_ZL25rocblas_symm_scale_kernelILi128ELi8EdPKPdEviiT1_T2_llli, .Lfunc_end41-_ZL25rocblas_symm_scale_kernelILi128ELi8EdPKPdEviiT1_T2_llli
                                        ; -- End function
	.section	.AMDGPU.csdata,"",@progbits
; Kernel info:
; codeLenInByte = 376
; NumSgprs: 24
; NumVgprs: 8
; NumAgprs: 0
; TotalNumVgprs: 8
; ScratchSize: 0
; MemoryBound: 1
; FloatMode: 240
; IeeeMode: 1
; LDSByteSize: 0 bytes/workgroup (compile time only)
; SGPRBlocks: 2
; VGPRBlocks: 0
; NumSGPRsForWavesPerEU: 24
; NumVGPRsForWavesPerEU: 8
; AccumOffset: 8
; Occupancy: 8
; WaveLimiterHint : 0
; COMPUTE_PGM_RSRC2:SCRATCH_EN: 0
; COMPUTE_PGM_RSRC2:USER_SGPR: 6
; COMPUTE_PGM_RSRC2:TRAP_HANDLER: 0
; COMPUTE_PGM_RSRC2:TGID_X_EN: 1
; COMPUTE_PGM_RSRC2:TGID_Y_EN: 1
; COMPUTE_PGM_RSRC2:TGID_Z_EN: 1
; COMPUTE_PGM_RSRC2:TIDIG_COMP_CNT: 1
; COMPUTE_PGM_RSRC3_GFX90A:ACCUM_OFFSET: 1
; COMPUTE_PGM_RSRC3_GFX90A:TG_SPLIT: 0
	.section	.text._ZL24rocblas_symm_hemm_kernelILb0ELb0ELi32EdPKPKdPKPdEvbiiT2_T3_lllS8_lllT4_llli,"axG",@progbits,_ZL24rocblas_symm_hemm_kernelILb0ELb0ELi32EdPKPKdPKPdEvbiiT2_T3_lllS8_lllT4_llli,comdat
	.globl	_ZL24rocblas_symm_hemm_kernelILb0ELb0ELi32EdPKPKdPKPdEvbiiT2_T3_lllS8_lllT4_llli ; -- Begin function _ZL24rocblas_symm_hemm_kernelILb0ELb0ELi32EdPKPKdPKPdEvbiiT2_T3_lllS8_lllT4_llli
	.p2align	8
	.type	_ZL24rocblas_symm_hemm_kernelILb0ELb0ELi32EdPKPKdPKPdEvbiiT2_T3_lllS8_lllT4_llli,@function
_ZL24rocblas_symm_hemm_kernelILb0ELb0ELi32EdPKPKdPKPdEvbiiT2_T3_lllS8_lllT4_llli: ; @_ZL24rocblas_symm_hemm_kernelILb0ELb0ELi32EdPKPKdPKPdEvbiiT2_T3_lllS8_lllT4_llli
; %bb.0:
	s_load_dwordx8 s[12:19], s[4:5], 0x10
	s_waitcnt lgkmcnt(0)
	v_cmp_eq_f64_e64 s[0:1], s[12:13], 0
	s_and_b64 vcc, exec, s[0:1]
	s_cbranch_vccnz .LBB42_13
; %bb.1:
	s_load_dwordx4 s[20:23], s[4:5], 0x0
	s_waitcnt lgkmcnt(0)
	s_add_i32 s0, s22, -1
	s_ashr_i32 s1, s0, 31
	s_lshr_b32 s1, s1, 27
	s_add_i32 s0, s0, s1
	s_ashr_i32 s23, s0, 5
	s_cmp_gt_i32 s7, s23
	s_cbranch_scc1 .LBB42_13
; %bb.2:
	s_mov_b32 s9, 0
	s_lshl_b64 s[8:9], s[8:9], 3
	s_add_u32 s14, s14, s8
	s_addc_u32 s15, s15, s9
	s_load_dwordx2 s[24:25], s[14:15], 0x0
	s_load_dwordx4 s[0:3], s[4:5], 0x38
	s_load_dwordx2 s[10:11], s[4:5], 0x48
	s_lshl_b64 s[14:15], s[16:17], 3
	v_and_b32_e32 v10, 0x3ff, v0
	s_waitcnt lgkmcnt(0)
	s_add_u32 s26, s24, s14
	s_addc_u32 s27, s25, s15
	s_add_u32 s0, s0, s8
	s_addc_u32 s1, s1, s9
	s_load_dwordx2 s[16:17], s[0:1], 0x0
	s_load_dwordx4 s[36:39], s[4:5], 0x58
	s_load_dwordx2 s[14:15], s[4:5], 0x68
	s_lshl_b64 s[0:1], s[2:3], 3
	v_bfe_u32 v11, v0, 10, 10
	s_waitcnt lgkmcnt(0)
	s_add_u32 s28, s16, s0
	s_addc_u32 s29, s17, s1
	s_add_u32 s0, s36, s8
	s_addc_u32 s1, s37, s9
	s_load_dwordx2 s[2:3], s[0:1], 0x0
	v_lshl_add_u32 v0, s6, 5, v10
	s_bitcmp1_b32 s20, 0
	v_lshlrev_b32_e32 v1, 3, v11
	v_lshlrev_b32_e32 v12, 8, v10
	s_cselect_b64 s[0:1], -1, 0
	s_lshl_b64 s[8:9], s[38:39], 3
	v_add_u32_e32 v13, v12, v1
	v_or_b32_e32 v14, 0x2000, v1
	v_ashrrev_i32_e32 v1, 31, v0
	s_waitcnt lgkmcnt(0)
	s_add_u32 s6, s2, s8
	v_lshlrev_b64 v[2:3], 3, v[0:1]
	s_addc_u32 s8, s3, s9
	v_add_co_u32_e32 v1, vcc, s6, v2
	s_load_dword s6, s[4:5], 0x84
	s_cmp_gt_i32 s21, 0
	s_cselect_b64 s[4:5], -1, 0
	v_mov_b32_e32 v4, s8
	v_cndmask_b32_e64 v2, 0, 1, s[4:5]
	v_add_u32_e32 v15, v14, v12
	v_cmp_gt_i32_e64 s[2:3], s21, v0
	v_addc_co_u32_e32 v16, vcc, v4, v3, vcc
	v_cmp_ne_u32_e64 s[4:5], 1, v2
	v_add_u32_e32 v17, 0x800, v14
	v_add_u32_e32 v18, 0x1000, v14
	;; [unrolled: 1-line block ×3, first 2 shown]
	s_branch .LBB42_4
.LBB42_3:                               ;   in Loop: Header=BB42_4 Depth=1
	s_waitcnt lgkmcnt(0)
	s_add_i32 s7, s7, s6
	s_cmp_gt_i32 s7, s23
	s_cbranch_scc1 .LBB42_13
.LBB42_4:                               ; =>This Loop Header: Depth=1
                                        ;     Child Loop BB42_7 Depth 2
	s_and_b64 vcc, exec, s[4:5]
	s_cbranch_vccnz .LBB42_3
; %bb.5:                                ;   in Loop: Header=BB42_4 Depth=1
	v_lshl_add_u32 v4, s7, 5, v11
	v_ashrrev_i32_e32 v5, 31, v4
	v_mul_lo_u32 v6, v5, s10
	v_mul_lo_u32 v7, v4, s11
	v_mad_u64_u32 v[2:3], s[8:9], v4, s10, 0
	v_add3_u32 v3, v3, v7, v6
	v_lshlrev_b64 v[2:3], 3, v[2:3]
	v_mov_b32_e32 v6, s29
	v_add_co_u32_e64 v20, s[8:9], s28, v2
	v_addc_co_u32_e64 v21, s[8:9], v6, v3, s[8:9]
	v_mul_lo_u32 v5, v5, s14
	v_mul_lo_u32 v6, v4, s15
	v_mad_u64_u32 v[2:3], s[8:9], v4, s14, 0
	v_add3_u32 v3, v3, v6, v5
	v_lshlrev_b64 v[2:3], 3, v[2:3]
	v_cmp_gt_i32_e32 vcc, s22, v4
	v_add_co_u32_e64 v2, s[8:9], v1, v2
	s_and_b64 s[16:17], s[2:3], vcc
	v_addc_co_u32_e64 v3, s[8:9], v16, v3, s[8:9]
	s_mov_b32 s20, 0
	s_branch .LBB42_7
.LBB42_6:                               ;   in Loop: Header=BB42_7 Depth=2
	s_or_b64 exec, exec, s[8:9]
	s_add_i32 s20, s20, 32
	s_cmp_ge_i32 s20, s21
	s_barrier
	s_cbranch_scc1 .LBB42_3
.LBB42_7:                               ;   Parent Loop BB42_4 Depth=1
                                        ; =>  This Inner Loop Header: Depth=2
	v_add_u32_e32 v4, s20, v11
	v_cndmask_b32_e64 v5, v4, v0, s[0:1]
	v_cndmask_b32_e64 v6, v0, v4, s[0:1]
	v_cmp_gt_i32_e64 s[8:9], v5, v6
	v_cndmask_b32_e64 v6, v0, v4, s[8:9]
	v_cndmask_b32_e64 v7, v4, v0, s[8:9]
	v_max_i32_e32 v4, v6, v7
	v_cmp_gt_i32_e64 s[8:9], s21, v4
	v_pk_mov_b32 v[4:5], 0, 0
	v_pk_mov_b32 v[8:9], v[4:5], v[4:5] op_sel:[0,1]
	s_and_saveexec_b64 s[24:25], s[8:9]
	s_cbranch_execz .LBB42_9
; %bb.8:                                ;   in Loop: Header=BB42_7 Depth=2
	v_ashrrev_i32_e32 v8, 31, v7
	v_mul_lo_u32 v22, v7, s19
	v_mul_lo_u32 v23, v8, s18
	v_mad_u64_u32 v[8:9], s[8:9], v7, s18, 0
	v_add3_u32 v9, v9, v22, v23
	v_lshlrev_b64 v[8:9], 3, v[8:9]
	v_ashrrev_i32_e32 v7, 31, v6
	v_mov_b32_e32 v22, s27
	v_add_co_u32_e64 v8, s[8:9], s26, v8
	v_addc_co_u32_e64 v9, s[8:9], v22, v9, s[8:9]
	v_lshlrev_b64 v[6:7], 3, v[6:7]
	v_add_co_u32_e64 v6, s[8:9], v8, v6
	v_addc_co_u32_e64 v7, s[8:9], v9, v7, s[8:9]
	global_load_dwordx2 v[8:9], v[6:7], off
.LBB42_9:                               ;   in Loop: Header=BB42_7 Depth=2
	s_or_b64 exec, exec, s[24:25]
	v_add_u32_e32 v6, s20, v10
	v_cmp_gt_i32_e64 s[8:9], s21, v6
	s_and_b64 s[8:9], s[8:9], vcc
	s_waitcnt vmcnt(0)
	ds_write_b64 v13, v[8:9]
	s_and_saveexec_b64 s[24:25], s[8:9]
	s_cbranch_execz .LBB42_11
; %bb.10:                               ;   in Loop: Header=BB42_7 Depth=2
	v_ashrrev_i32_e32 v7, 31, v6
	v_lshlrev_b64 v[4:5], 3, v[6:7]
	v_add_co_u32_e64 v4, s[8:9], v20, v4
	v_addc_co_u32_e64 v5, s[8:9], v21, v5, s[8:9]
	global_load_dwordx2 v[4:5], v[4:5], off
.LBB42_11:                              ;   in Loop: Header=BB42_7 Depth=2
	s_or_b64 exec, exec, s[24:25]
	s_waitcnt vmcnt(0)
	ds_write_b64 v15, v[4:5]
	s_waitcnt lgkmcnt(0)
	s_barrier
	s_and_saveexec_b64 s[8:9], s[16:17]
	s_cbranch_execz .LBB42_6
; %bb.12:                               ;   in Loop: Header=BB42_7 Depth=2
	global_load_dwordx2 v[8:9], v[2:3], off
	ds_read2_b64 v[4:7], v14 offset1:32
	ds_read_b128 v[22:25], v12
	ds_read_b128 v[26:29], v12 offset:16
	ds_read2_b64 v[30:33], v14 offset0:64 offset1:96
	ds_read_b128 v[34:37], v12 offset:32
	ds_read_b128 v[38:41], v12 offset:48
	ds_read2_b64 v[42:45], v14 offset0:128 offset1:160
	s_waitcnt lgkmcnt(5)
	v_fma_f64 v[46:47], v[22:23], v[4:5], 0
	v_fmac_f64_e32 v[46:47], v[24:25], v[6:7]
	ds_read2_b64 v[4:7], v14 offset0:192 offset1:224
	s_waitcnt lgkmcnt(4)
	v_fmac_f64_e32 v[46:47], v[26:27], v[30:31]
	v_fmac_f64_e32 v[46:47], v[28:29], v[32:33]
	s_waitcnt lgkmcnt(1)
	v_fmac_f64_e32 v[46:47], v[34:35], v[42:43]
	v_fmac_f64_e32 v[46:47], v[36:37], v[44:45]
	ds_read2_b64 v[22:25], v17 offset1:32
	ds_read_b128 v[26:29], v12 offset:64
	s_waitcnt lgkmcnt(2)
	v_fmac_f64_e32 v[46:47], v[38:39], v[4:5]
	v_fmac_f64_e32 v[46:47], v[40:41], v[6:7]
	ds_read_b128 v[4:7], v12 offset:80
	ds_read2_b64 v[30:33], v17 offset0:64 offset1:96
	s_waitcnt lgkmcnt(2)
	v_fmac_f64_e32 v[46:47], v[26:27], v[22:23]
	v_fmac_f64_e32 v[46:47], v[28:29], v[24:25]
	ds_read2_b64 v[22:25], v17 offset0:128 offset1:160
	ds_read_b128 v[26:29], v12 offset:96
	s_waitcnt lgkmcnt(2)
	v_fmac_f64_e32 v[46:47], v[4:5], v[30:31]
	v_fmac_f64_e32 v[46:47], v[6:7], v[32:33]
	ds_read_b128 v[4:7], v12 offset:112
	ds_read2_b64 v[30:33], v17 offset0:192 offset1:224
	s_waitcnt lgkmcnt(2)
	v_fmac_f64_e32 v[46:47], v[26:27], v[22:23]
	v_fmac_f64_e32 v[46:47], v[28:29], v[24:25]
	ds_read2_b64 v[22:25], v18 offset1:32
	ds_read_b128 v[26:29], v12 offset:128
	s_waitcnt lgkmcnt(2)
	v_fmac_f64_e32 v[46:47], v[4:5], v[30:31]
	v_fmac_f64_e32 v[46:47], v[6:7], v[32:33]
	ds_read_b128 v[4:7], v12 offset:144
	ds_read2_b64 v[30:33], v18 offset0:64 offset1:96
	s_waitcnt lgkmcnt(2)
	v_fmac_f64_e32 v[46:47], v[26:27], v[22:23]
	v_fmac_f64_e32 v[46:47], v[28:29], v[24:25]
	ds_read2_b64 v[22:25], v18 offset0:128 offset1:160
	ds_read_b128 v[26:29], v12 offset:160
	s_waitcnt lgkmcnt(2)
	v_fmac_f64_e32 v[46:47], v[4:5], v[30:31]
	v_fmac_f64_e32 v[46:47], v[6:7], v[32:33]
	ds_read_b128 v[4:7], v12 offset:176
	ds_read2_b64 v[30:33], v18 offset0:192 offset1:224
	ds_read2_b64 v[34:37], v19 offset1:32
	ds_read_b128 v[38:41], v12 offset:192
	s_waitcnt lgkmcnt(4)
	v_fmac_f64_e32 v[46:47], v[26:27], v[22:23]
	v_fmac_f64_e32 v[46:47], v[28:29], v[24:25]
	s_waitcnt lgkmcnt(2)
	v_fmac_f64_e32 v[46:47], v[4:5], v[30:31]
	v_fmac_f64_e32 v[46:47], v[6:7], v[32:33]
	ds_read_b128 v[4:7], v12 offset:208
	s_waitcnt lgkmcnt(1)
	v_fmac_f64_e32 v[46:47], v[38:39], v[34:35]
	v_fmac_f64_e32 v[46:47], v[40:41], v[36:37]
	ds_read2_b64 v[22:25], v19 offset0:64 offset1:96
	ds_read2_b64 v[26:29], v19 offset0:128 offset1:160
	ds_read_b128 v[30:33], v12 offset:224
	ds_read_b128 v[34:37], v12 offset:240
	ds_read2_b64 v[38:41], v19 offset0:192 offset1:224
	s_waitcnt lgkmcnt(4)
	v_fmac_f64_e32 v[46:47], v[4:5], v[22:23]
	v_fmac_f64_e32 v[46:47], v[6:7], v[24:25]
	s_waitcnt lgkmcnt(2)
	v_fmac_f64_e32 v[46:47], v[30:31], v[26:27]
	v_fmac_f64_e32 v[46:47], v[32:33], v[28:29]
	;; [unrolled: 3-line block ×3, first 2 shown]
	s_waitcnt vmcnt(0)
	v_fmac_f64_e32 v[8:9], s[12:13], v[46:47]
	global_store_dwordx2 v[2:3], v[8:9], off
	s_branch .LBB42_6
.LBB42_13:
	s_endpgm
	.section	.rodata,"a",@progbits
	.p2align	6, 0x0
	.amdhsa_kernel _ZL24rocblas_symm_hemm_kernelILb0ELb0ELi32EdPKPKdPKPdEvbiiT2_T3_lllS8_lllT4_llli
		.amdhsa_group_segment_fixed_size 16384
		.amdhsa_private_segment_fixed_size 0
		.amdhsa_kernarg_size 384
		.amdhsa_user_sgpr_count 6
		.amdhsa_user_sgpr_private_segment_buffer 1
		.amdhsa_user_sgpr_dispatch_ptr 0
		.amdhsa_user_sgpr_queue_ptr 0
		.amdhsa_user_sgpr_kernarg_segment_ptr 1
		.amdhsa_user_sgpr_dispatch_id 0
		.amdhsa_user_sgpr_flat_scratch_init 0
		.amdhsa_user_sgpr_kernarg_preload_length 0
		.amdhsa_user_sgpr_kernarg_preload_offset 0
		.amdhsa_user_sgpr_private_segment_size 0
		.amdhsa_uses_dynamic_stack 0
		.amdhsa_system_sgpr_private_segment_wavefront_offset 0
		.amdhsa_system_sgpr_workgroup_id_x 1
		.amdhsa_system_sgpr_workgroup_id_y 1
		.amdhsa_system_sgpr_workgroup_id_z 1
		.amdhsa_system_sgpr_workgroup_info 0
		.amdhsa_system_vgpr_workitem_id 1
		.amdhsa_next_free_vgpr 48
		.amdhsa_next_free_sgpr 40
		.amdhsa_accum_offset 48
		.amdhsa_reserve_vcc 1
		.amdhsa_reserve_flat_scratch 0
		.amdhsa_float_round_mode_32 0
		.amdhsa_float_round_mode_16_64 0
		.amdhsa_float_denorm_mode_32 3
		.amdhsa_float_denorm_mode_16_64 3
		.amdhsa_dx10_clamp 1
		.amdhsa_ieee_mode 1
		.amdhsa_fp16_overflow 0
		.amdhsa_tg_split 0
		.amdhsa_exception_fp_ieee_invalid_op 0
		.amdhsa_exception_fp_denorm_src 0
		.amdhsa_exception_fp_ieee_div_zero 0
		.amdhsa_exception_fp_ieee_overflow 0
		.amdhsa_exception_fp_ieee_underflow 0
		.amdhsa_exception_fp_ieee_inexact 0
		.amdhsa_exception_int_div_zero 0
	.end_amdhsa_kernel
	.section	.text._ZL24rocblas_symm_hemm_kernelILb0ELb0ELi32EdPKPKdPKPdEvbiiT2_T3_lllS8_lllT4_llli,"axG",@progbits,_ZL24rocblas_symm_hemm_kernelILb0ELb0ELi32EdPKPKdPKPdEvbiiT2_T3_lllS8_lllT4_llli,comdat
.Lfunc_end42:
	.size	_ZL24rocblas_symm_hemm_kernelILb0ELb0ELi32EdPKPKdPKPdEvbiiT2_T3_lllS8_lllT4_llli, .Lfunc_end42-_ZL24rocblas_symm_hemm_kernelILb0ELb0ELi32EdPKPKdPKPdEvbiiT2_T3_lllS8_lllT4_llli
                                        ; -- End function
	.section	.AMDGPU.csdata,"",@progbits
; Kernel info:
; codeLenInByte = 1312
; NumSgprs: 44
; NumVgprs: 48
; NumAgprs: 0
; TotalNumVgprs: 48
; ScratchSize: 0
; MemoryBound: 0
; FloatMode: 240
; IeeeMode: 1
; LDSByteSize: 16384 bytes/workgroup (compile time only)
; SGPRBlocks: 5
; VGPRBlocks: 5
; NumSGPRsForWavesPerEU: 44
; NumVGPRsForWavesPerEU: 48
; AccumOffset: 48
; Occupancy: 8
; WaveLimiterHint : 1
; COMPUTE_PGM_RSRC2:SCRATCH_EN: 0
; COMPUTE_PGM_RSRC2:USER_SGPR: 6
; COMPUTE_PGM_RSRC2:TRAP_HANDLER: 0
; COMPUTE_PGM_RSRC2:TGID_X_EN: 1
; COMPUTE_PGM_RSRC2:TGID_Y_EN: 1
; COMPUTE_PGM_RSRC2:TGID_Z_EN: 1
; COMPUTE_PGM_RSRC2:TIDIG_COMP_CNT: 1
; COMPUTE_PGM_RSRC3_GFX90A:ACCUM_OFFSET: 11
; COMPUTE_PGM_RSRC3_GFX90A:TG_SPLIT: 0
	.section	.text._ZL24rocblas_symm_hemm_kernelILb0ELb1ELi32EdPKPKdPKPdEvbiiT2_T3_lllS8_lllT4_llli,"axG",@progbits,_ZL24rocblas_symm_hemm_kernelILb0ELb1ELi32EdPKPKdPKPdEvbiiT2_T3_lllS8_lllT4_llli,comdat
	.globl	_ZL24rocblas_symm_hemm_kernelILb0ELb1ELi32EdPKPKdPKPdEvbiiT2_T3_lllS8_lllT4_llli ; -- Begin function _ZL24rocblas_symm_hemm_kernelILb0ELb1ELi32EdPKPKdPKPdEvbiiT2_T3_lllS8_lllT4_llli
	.p2align	8
	.type	_ZL24rocblas_symm_hemm_kernelILb0ELb1ELi32EdPKPKdPKPdEvbiiT2_T3_lllS8_lllT4_llli,@function
_ZL24rocblas_symm_hemm_kernelILb0ELb1ELi32EdPKPKdPKPdEvbiiT2_T3_lllS8_lllT4_llli: ; @_ZL24rocblas_symm_hemm_kernelILb0ELb1ELi32EdPKPKdPKPdEvbiiT2_T3_lllS8_lllT4_llli
; %bb.0:
	s_load_dwordx8 s[12:19], s[4:5], 0x10
	s_waitcnt lgkmcnt(0)
	v_cmp_eq_f64_e64 s[0:1], s[12:13], 0
	s_and_b64 vcc, exec, s[0:1]
	s_cbranch_vccnz .LBB43_13
; %bb.1:
	s_load_dwordx4 s[20:23], s[4:5], 0x0
	s_waitcnt lgkmcnt(0)
	s_add_i32 s0, s22, -1
	s_ashr_i32 s1, s0, 31
	s_lshr_b32 s1, s1, 27
	s_add_i32 s0, s0, s1
	s_ashr_i32 s23, s0, 5
	s_cmp_gt_i32 s7, s23
	s_cbranch_scc1 .LBB43_13
; %bb.2:
	s_mov_b32 s9, 0
	s_lshl_b64 s[26:27], s[8:9], 3
	s_add_u32 s14, s14, s26
	s_addc_u32 s15, s15, s27
	s_load_dwordx2 s[24:25], s[14:15], 0x0
	s_load_dwordx4 s[0:3], s[4:5], 0x38
	s_load_dwordx2 s[8:9], s[4:5], 0x48
	s_load_dwordx4 s[28:31], s[4:5], 0x58
	s_load_dwordx2 s[10:11], s[4:5], 0x68
	s_lshl_b64 s[14:15], s[16:17], 3
	s_waitcnt lgkmcnt(0)
	s_add_u32 s24, s24, s14
	s_addc_u32 s25, s25, s15
	s_add_u32 s0, s0, s26
	s_addc_u32 s1, s1, s27
	;; [unrolled: 2-line block ×3, first 2 shown]
	s_load_dwordx2 s[16:17], s[14:15], 0x0
	s_load_dwordx2 s[26:27], s[0:1], 0x0
	s_bitcmp1_b32 s20, 0
	s_cselect_b64 s[0:1], -1, 0
	s_lshl_b64 s[14:15], s[30:31], 3
	s_waitcnt lgkmcnt(0)
	s_add_u32 s14, s16, s14
	v_and_b32_e32 v6, 0x3ff, v0
	s_addc_u32 s15, s17, s15
	s_lshl_b64 s[2:3], s[2:3], 3
	v_lshl_add_u32 v2, s6, 5, v6
	s_add_u32 s16, s26, s2
	v_ashrrev_i32_e32 v3, 31, v2
	s_addc_u32 s17, s27, s3
	v_bfe_u32 v7, v0, 10, 10
	v_lshlrev_b64 v[0:1], 3, v[2:3]
	s_load_dword s6, s[4:5], 0x84
	s_cmp_gt_i32 s22, 0
	v_cmp_gt_i32_e64 s[2:3], s21, v2
	v_mov_b32_e32 v2, s17
	v_add_co_u32_e32 v8, vcc, s16, v0
	v_addc_co_u32_e32 v9, vcc, v2, v1, vcc
	v_lshlrev_b32_e32 v2, 3, v7
	v_lshlrev_b32_e32 v10, 8, v6
	s_cselect_b64 s[4:5], -1, 0
	v_add_u32_e32 v11, v10, v2
	v_or_b32_e32 v12, 0x2000, v2
	v_mov_b32_e32 v2, s15
	v_add_co_u32_e32 v14, vcc, s14, v0
	v_cndmask_b32_e64 v0, 0, 1, s[4:5]
	v_add_u32_e32 v13, v12, v10
	v_addc_co_u32_e32 v15, vcc, v2, v1, vcc
	v_cmp_ne_u32_e64 s[4:5], 1, v0
	v_add_u32_e32 v16, 0x800, v12
	v_add_u32_e32 v17, 0x1000, v12
	;; [unrolled: 1-line block ×3, first 2 shown]
	s_branch .LBB43_4
.LBB43_3:                               ;   in Loop: Header=BB43_4 Depth=1
	s_waitcnt lgkmcnt(0)
	s_add_i32 s7, s7, s6
	s_cmp_gt_i32 s7, s23
	s_cbranch_scc1 .LBB43_13
.LBB43_4:                               ; =>This Loop Header: Depth=1
                                        ;     Child Loop BB43_7 Depth 2
	s_and_b64 vcc, exec, s[4:5]
	s_cbranch_vccnz .LBB43_3
; %bb.5:                                ;   in Loop: Header=BB43_4 Depth=1
	v_lshl_add_u32 v19, s7, 5, v7
	v_ashrrev_i32_e32 v0, 31, v19
	v_mul_lo_u32 v2, v0, s10
	v_mul_lo_u32 v3, v19, s11
	v_mad_u64_u32 v[0:1], s[16:17], v19, s10, 0
	v_add3_u32 v1, v1, v3, v2
	v_cmp_gt_i32_e32 vcc, s22, v19
	v_lshlrev_b64 v[0:1], 3, v[0:1]
	s_and_b64 s[14:15], s[2:3], vcc
	v_add_co_u32_e32 v0, vcc, v14, v0
	v_addc_co_u32_e32 v1, vcc, v15, v1, vcc
	s_mov_b32 s20, 0
	s_branch .LBB43_7
.LBB43_6:                               ;   in Loop: Header=BB43_7 Depth=2
	s_or_b64 exec, exec, s[16:17]
	s_add_i32 s20, s20, 32
	s_cmp_ge_i32 s20, s22
	s_barrier
	s_cbranch_scc1 .LBB43_3
.LBB43_7:                               ;   Parent Loop BB43_4 Depth=1
                                        ; =>  This Inner Loop Header: Depth=2
	v_add_u32_e32 v20, s20, v7
	v_cmp_gt_i32_e32 vcc, s22, v20
	v_pk_mov_b32 v[2:3], 0, 0
	s_and_b64 s[26:27], s[2:3], vcc
	v_pk_mov_b32 v[4:5], v[2:3], v[2:3] op_sel:[0,1]
	s_and_saveexec_b64 s[16:17], s[26:27]
	s_cbranch_execz .LBB43_9
; %bb.8:                                ;   in Loop: Header=BB43_7 Depth=2
	v_ashrrev_i32_e32 v4, 31, v20
	v_mul_lo_u32 v21, v20, s9
	v_mul_lo_u32 v22, v4, s8
	v_mad_u64_u32 v[4:5], s[26:27], v20, s8, 0
	v_add3_u32 v5, v5, v21, v22
	v_lshlrev_b64 v[4:5], 3, v[4:5]
	v_add_co_u32_e32 v4, vcc, v8, v4
	v_addc_co_u32_e32 v5, vcc, v9, v5, vcc
	global_load_dwordx2 v[4:5], v[4:5], off
.LBB43_9:                               ;   in Loop: Header=BB43_7 Depth=2
	s_or_b64 exec, exec, s[16:17]
	s_waitcnt vmcnt(0)
	ds_write_b64 v11, v[4:5]
	v_add_u32_e32 v5, s20, v6
	v_cndmask_b32_e64 v4, v19, v5, s[0:1]
	v_cndmask_b32_e64 v20, v5, v19, s[0:1]
	v_cmp_gt_i32_e32 vcc, v4, v20
	v_cndmask_b32_e32 v4, v5, v19, vcc
	v_cndmask_b32_e32 v5, v19, v5, vcc
	v_max_i32_e32 v20, v4, v5
	v_cmp_gt_i32_e32 vcc, s22, v20
	s_and_saveexec_b64 s[16:17], vcc
	s_cbranch_execz .LBB43_11
; %bb.10:                               ;   in Loop: Header=BB43_7 Depth=2
	v_ashrrev_i32_e32 v2, 31, v5
	v_mul_lo_u32 v20, v5, s19
	v_mul_lo_u32 v21, v2, s18
	v_mad_u64_u32 v[2:3], s[26:27], v5, s18, 0
	v_add3_u32 v3, v3, v20, v21
	v_lshlrev_b64 v[2:3], 3, v[2:3]
	v_ashrrev_i32_e32 v5, 31, v4
	v_mov_b32_e32 v20, s25
	v_add_co_u32_e32 v21, vcc, s24, v2
	v_addc_co_u32_e32 v20, vcc, v20, v3, vcc
	v_lshlrev_b64 v[2:3], 3, v[4:5]
	v_add_co_u32_e32 v2, vcc, v21, v2
	v_addc_co_u32_e32 v3, vcc, v20, v3, vcc
	global_load_dwordx2 v[2:3], v[2:3], off
.LBB43_11:                              ;   in Loop: Header=BB43_7 Depth=2
	s_or_b64 exec, exec, s[16:17]
	s_waitcnt vmcnt(0)
	ds_write_b64 v13, v[2:3]
	s_waitcnt lgkmcnt(0)
	s_barrier
	s_and_saveexec_b64 s[16:17], s[14:15]
	s_cbranch_execz .LBB43_6
; %bb.12:                               ;   in Loop: Header=BB43_7 Depth=2
	global_load_dwordx2 v[44:45], v[0:1], off
	ds_read2_b64 v[2:5], v12 offset1:32
	ds_read_b128 v[20:23], v10
	ds_read_b128 v[24:27], v10 offset:16
	ds_read2_b64 v[28:31], v12 offset0:64 offset1:96
	ds_read_b128 v[32:35], v10 offset:32
	ds_read_b128 v[36:39], v10 offset:48
	ds_read2_b64 v[40:43], v12 offset0:128 offset1:160
	s_waitcnt lgkmcnt(5)
	v_fma_f64 v[46:47], v[20:21], v[2:3], 0
	v_fmac_f64_e32 v[46:47], v[22:23], v[4:5]
	ds_read2_b64 v[2:5], v12 offset0:192 offset1:224
	s_waitcnt lgkmcnt(4)
	v_fmac_f64_e32 v[46:47], v[24:25], v[28:29]
	v_fmac_f64_e32 v[46:47], v[26:27], v[30:31]
	s_waitcnt lgkmcnt(1)
	v_fmac_f64_e32 v[46:47], v[32:33], v[40:41]
	v_fmac_f64_e32 v[46:47], v[34:35], v[42:43]
	ds_read2_b64 v[20:23], v16 offset1:32
	ds_read_b128 v[24:27], v10 offset:64
	s_waitcnt lgkmcnt(2)
	v_fmac_f64_e32 v[46:47], v[36:37], v[2:3]
	v_fmac_f64_e32 v[46:47], v[38:39], v[4:5]
	ds_read_b128 v[2:5], v10 offset:80
	ds_read2_b64 v[28:31], v16 offset0:64 offset1:96
	s_waitcnt lgkmcnt(2)
	v_fmac_f64_e32 v[46:47], v[24:25], v[20:21]
	v_fmac_f64_e32 v[46:47], v[26:27], v[22:23]
	ds_read2_b64 v[20:23], v16 offset0:128 offset1:160
	ds_read_b128 v[24:27], v10 offset:96
	s_waitcnt lgkmcnt(2)
	v_fmac_f64_e32 v[46:47], v[2:3], v[28:29]
	v_fmac_f64_e32 v[46:47], v[4:5], v[30:31]
	ds_read_b128 v[2:5], v10 offset:112
	ds_read2_b64 v[28:31], v16 offset0:192 offset1:224
	s_waitcnt lgkmcnt(2)
	v_fmac_f64_e32 v[46:47], v[24:25], v[20:21]
	v_fmac_f64_e32 v[46:47], v[26:27], v[22:23]
	ds_read2_b64 v[20:23], v17 offset1:32
	ds_read_b128 v[24:27], v10 offset:128
	s_waitcnt lgkmcnt(2)
	v_fmac_f64_e32 v[46:47], v[2:3], v[28:29]
	v_fmac_f64_e32 v[46:47], v[4:5], v[30:31]
	ds_read_b128 v[2:5], v10 offset:144
	ds_read2_b64 v[28:31], v17 offset0:64 offset1:96
	s_waitcnt lgkmcnt(2)
	v_fmac_f64_e32 v[46:47], v[24:25], v[20:21]
	v_fmac_f64_e32 v[46:47], v[26:27], v[22:23]
	ds_read2_b64 v[20:23], v17 offset0:128 offset1:160
	ds_read_b128 v[24:27], v10 offset:160
	s_waitcnt lgkmcnt(2)
	v_fmac_f64_e32 v[46:47], v[2:3], v[28:29]
	v_fmac_f64_e32 v[46:47], v[4:5], v[30:31]
	ds_read_b128 v[2:5], v10 offset:176
	ds_read2_b64 v[28:31], v17 offset0:192 offset1:224
	ds_read2_b64 v[32:35], v18 offset1:32
	ds_read_b128 v[36:39], v10 offset:192
	s_waitcnt lgkmcnt(4)
	v_fmac_f64_e32 v[46:47], v[24:25], v[20:21]
	v_fmac_f64_e32 v[46:47], v[26:27], v[22:23]
	s_waitcnt lgkmcnt(2)
	v_fmac_f64_e32 v[46:47], v[2:3], v[28:29]
	v_fmac_f64_e32 v[46:47], v[4:5], v[30:31]
	ds_read_b128 v[2:5], v10 offset:208
	s_waitcnt lgkmcnt(1)
	v_fmac_f64_e32 v[46:47], v[36:37], v[32:33]
	v_fmac_f64_e32 v[46:47], v[38:39], v[34:35]
	ds_read2_b64 v[20:23], v18 offset0:64 offset1:96
	ds_read2_b64 v[24:27], v18 offset0:128 offset1:160
	ds_read_b128 v[28:31], v10 offset:224
	ds_read_b128 v[32:35], v10 offset:240
	ds_read2_b64 v[36:39], v18 offset0:192 offset1:224
	s_waitcnt lgkmcnt(4)
	v_fmac_f64_e32 v[46:47], v[2:3], v[20:21]
	v_fmac_f64_e32 v[46:47], v[4:5], v[22:23]
	s_waitcnt lgkmcnt(2)
	v_fmac_f64_e32 v[46:47], v[28:29], v[24:25]
	v_fmac_f64_e32 v[46:47], v[30:31], v[26:27]
	;; [unrolled: 3-line block ×3, first 2 shown]
	s_waitcnt vmcnt(0)
	v_fmac_f64_e32 v[44:45], s[12:13], v[46:47]
	global_store_dwordx2 v[0:1], v[44:45], off
	s_branch .LBB43_6
.LBB43_13:
	s_endpgm
	.section	.rodata,"a",@progbits
	.p2align	6, 0x0
	.amdhsa_kernel _ZL24rocblas_symm_hemm_kernelILb0ELb1ELi32EdPKPKdPKPdEvbiiT2_T3_lllS8_lllT4_llli
		.amdhsa_group_segment_fixed_size 16384
		.amdhsa_private_segment_fixed_size 0
		.amdhsa_kernarg_size 384
		.amdhsa_user_sgpr_count 6
		.amdhsa_user_sgpr_private_segment_buffer 1
		.amdhsa_user_sgpr_dispatch_ptr 0
		.amdhsa_user_sgpr_queue_ptr 0
		.amdhsa_user_sgpr_kernarg_segment_ptr 1
		.amdhsa_user_sgpr_dispatch_id 0
		.amdhsa_user_sgpr_flat_scratch_init 0
		.amdhsa_user_sgpr_kernarg_preload_length 0
		.amdhsa_user_sgpr_kernarg_preload_offset 0
		.amdhsa_user_sgpr_private_segment_size 0
		.amdhsa_uses_dynamic_stack 0
		.amdhsa_system_sgpr_private_segment_wavefront_offset 0
		.amdhsa_system_sgpr_workgroup_id_x 1
		.amdhsa_system_sgpr_workgroup_id_y 1
		.amdhsa_system_sgpr_workgroup_id_z 1
		.amdhsa_system_sgpr_workgroup_info 0
		.amdhsa_system_vgpr_workitem_id 1
		.amdhsa_next_free_vgpr 48
		.amdhsa_next_free_sgpr 32
		.amdhsa_accum_offset 48
		.amdhsa_reserve_vcc 1
		.amdhsa_reserve_flat_scratch 0
		.amdhsa_float_round_mode_32 0
		.amdhsa_float_round_mode_16_64 0
		.amdhsa_float_denorm_mode_32 3
		.amdhsa_float_denorm_mode_16_64 3
		.amdhsa_dx10_clamp 1
		.amdhsa_ieee_mode 1
		.amdhsa_fp16_overflow 0
		.amdhsa_tg_split 0
		.amdhsa_exception_fp_ieee_invalid_op 0
		.amdhsa_exception_fp_denorm_src 0
		.amdhsa_exception_fp_ieee_div_zero 0
		.amdhsa_exception_fp_ieee_overflow 0
		.amdhsa_exception_fp_ieee_underflow 0
		.amdhsa_exception_fp_ieee_inexact 0
		.amdhsa_exception_int_div_zero 0
	.end_amdhsa_kernel
	.section	.text._ZL24rocblas_symm_hemm_kernelILb0ELb1ELi32EdPKPKdPKPdEvbiiT2_T3_lllS8_lllT4_llli,"axG",@progbits,_ZL24rocblas_symm_hemm_kernelILb0ELb1ELi32EdPKPKdPKPdEvbiiT2_T3_lllS8_lllT4_llli,comdat
.Lfunc_end43:
	.size	_ZL24rocblas_symm_hemm_kernelILb0ELb1ELi32EdPKPKdPKPdEvbiiT2_T3_lllS8_lllT4_llli, .Lfunc_end43-_ZL24rocblas_symm_hemm_kernelILb0ELb1ELi32EdPKPKdPKPdEvbiiT2_T3_lllS8_lllT4_llli
                                        ; -- End function
	.section	.AMDGPU.csdata,"",@progbits
; Kernel info:
; codeLenInByte = 1240
; NumSgprs: 36
; NumVgprs: 48
; NumAgprs: 0
; TotalNumVgprs: 48
; ScratchSize: 0
; MemoryBound: 0
; FloatMode: 240
; IeeeMode: 1
; LDSByteSize: 16384 bytes/workgroup (compile time only)
; SGPRBlocks: 4
; VGPRBlocks: 5
; NumSGPRsForWavesPerEU: 36
; NumVGPRsForWavesPerEU: 48
; AccumOffset: 48
; Occupancy: 8
; WaveLimiterHint : 1
; COMPUTE_PGM_RSRC2:SCRATCH_EN: 0
; COMPUTE_PGM_RSRC2:USER_SGPR: 6
; COMPUTE_PGM_RSRC2:TRAP_HANDLER: 0
; COMPUTE_PGM_RSRC2:TGID_X_EN: 1
; COMPUTE_PGM_RSRC2:TGID_Y_EN: 1
; COMPUTE_PGM_RSRC2:TGID_Z_EN: 1
; COMPUTE_PGM_RSRC2:TIDIG_COMP_CNT: 1
; COMPUTE_PGM_RSRC3_GFX90A:ACCUM_OFFSET: 11
; COMPUTE_PGM_RSRC3_GFX90A:TG_SPLIT: 0
	.section	.text._ZL25rocblas_symm_scale_kernelILi128ELi8EPK19rocblas_complex_numIfEPKPS1_EviiT1_T2_llli,"axG",@progbits,_ZL25rocblas_symm_scale_kernelILi128ELi8EPK19rocblas_complex_numIfEPKPS1_EviiT1_T2_llli,comdat
	.globl	_ZL25rocblas_symm_scale_kernelILi128ELi8EPK19rocblas_complex_numIfEPKPS1_EviiT1_T2_llli ; -- Begin function _ZL25rocblas_symm_scale_kernelILi128ELi8EPK19rocblas_complex_numIfEPKPS1_EviiT1_T2_llli
	.p2align	8
	.type	_ZL25rocblas_symm_scale_kernelILi128ELi8EPK19rocblas_complex_numIfEPKPS1_EviiT1_T2_llli,@function
_ZL25rocblas_symm_scale_kernelILi128ELi8EPK19rocblas_complex_numIfEPKPS1_EviiT1_T2_llli: ; @_ZL25rocblas_symm_scale_kernelILi128ELi8EPK19rocblas_complex_numIfEPKPS1_EviiT1_T2_llli
; %bb.0:
	s_load_dwordx8 s[12:19], s[4:5], 0x8
	s_waitcnt lgkmcnt(0)
	s_load_dwordx2 s[2:3], s[12:13], 0x0
	s_waitcnt lgkmcnt(0)
	v_cmp_eq_f32_e64 s[0:1], s2, 1.0
	v_cmp_eq_f32_e64 s[10:11], s3, 0
	s_and_b64 s[0:1], s[0:1], s[10:11]
	s_and_b64 vcc, exec, s[0:1]
	s_cbranch_vccnz .LBB44_6
; %bb.1:
	s_load_dwordx2 s[0:1], s[4:5], 0x0
	v_and_b32_e32 v1, 0x3ff, v0
	v_bfe_u32 v0, v0, 10, 10
	v_lshl_add_u32 v2, s6, 7, v1
	v_lshl_add_u32 v0, s7, 3, v0
	v_mov_b32_e32 v1, 0
	s_waitcnt lgkmcnt(0)
	s_ashr_i32 s7, s1, 31
	s_mov_b32 s6, s1
	v_cmp_gt_u32_e32 vcc, s0, v2
	v_cmp_gt_i64_e64 s[0:1], s[6:7], v[0:1]
	s_and_b64 s[0:1], vcc, s[0:1]
	s_and_saveexec_b64 s[10:11], s[0:1]
	s_cbranch_execz .LBB44_6
; %bb.2:
	s_mov_b32 s9, 0
	s_lshl_b64 s[0:1], s[8:9], 3
	s_load_dword s4, s[4:5], 0x3c
	s_add_u32 s0, s14, s0
	s_mov_b32 s10, s3
	s_addc_u32 s1, s15, s1
	s_or_b32 s3, s2, s3
	s_bitset0_b32 s3, 31
	s_cmp_lg_u32 s3, 0
	s_cselect_b64 s[14:15], -1, 0
	s_waitcnt lgkmcnt(0)
	s_lshl_b32 s3, s4, 3
	v_mad_u64_u32 v[4:5], s[4:5], s18, v0, 0
	v_mov_b32_e32 v6, v5
	v_mad_u64_u32 v[6:7], s[4:5], s19, v0, v[6:7]
	v_mov_b32_e32 v5, v6
	s_load_dwordx2 s[0:1], s[0:1], 0x0
	v_lshlrev_b64 v[4:5], 3, v[4:5]
	s_lshl_b64 s[4:5], s[16:17], 3
	v_mov_b32_e32 v3, v1
	v_mov_b32_e32 v6, s5
	v_add_co_u32_e32 v4, vcc, s4, v4
	v_addc_co_u32_e32 v5, vcc, v5, v6, vcc
	v_lshlrev_b64 v[2:3], 3, v[2:3]
	v_add_co_u32_e32 v2, vcc, v4, v2
	v_addc_co_u32_e32 v3, vcc, v5, v3, vcc
	s_waitcnt lgkmcnt(0)
	v_mov_b32_e32 v4, s1
	v_add_co_u32_e32 v2, vcc, s0, v2
	s_mul_i32 s0, s19, s3
	s_mul_hi_u32 s1, s18, s3
	v_addc_co_u32_e32 v3, vcc, v3, v4, vcc
	s_add_i32 s1, s1, s0
	s_mul_i32 s0, s18, s3
	v_add_co_u32_e32 v2, vcc, 4, v2
	s_lshl_b64 s[4:5], s[0:1], 3
	v_cndmask_b32_e64 v4, 0, 1, s[14:15]
	s_mov_b32 s11, s2
	v_addc_co_u32_e32 v3, vcc, 0, v3, vcc
	s_mov_b64 s[12:13], 0
	v_cmp_ne_u32_e64 s[0:1], 1, v4
	v_mov_b32_e32 v6, s9
	v_mov_b32_e32 v7, s5
	s_branch .LBB44_4
.LBB44_3:                               ;   in Loop: Header=BB44_4 Depth=1
	v_add_co_u32_e32 v0, vcc, s3, v0
	v_addc_co_u32_e32 v1, vcc, v1, v6, vcc
	v_cmp_le_i64_e32 vcc, s[6:7], v[0:1]
	global_store_dwordx2 v[2:3], v[4:5], off offset:-4
	s_or_b64 s[12:13], vcc, s[12:13]
	v_add_co_u32_e32 v2, vcc, s4, v2
	v_addc_co_u32_e32 v3, vcc, v3, v7, vcc
	s_andn2_b64 exec, exec, s[12:13]
	s_cbranch_execz .LBB44_6
.LBB44_4:                               ; =>This Inner Loop Header: Depth=1
	s_and_b64 vcc, exec, s[0:1]
	v_mov_b32_e32 v5, 0
	v_mov_b32_e32 v4, 0
	s_cbranch_vccnz .LBB44_3
; %bb.5:                                ;   in Loop: Header=BB44_4 Depth=1
	global_load_dwordx2 v[4:5], v[2:3], off offset:-4
	s_waitcnt vmcnt(0)
	v_mul_f32_e32 v10, s2, v4
	v_pk_mul_f32 v[8:9], v[4:5], s[10:11]
	v_fma_f32 v4, -v5, s10, v10
	v_add_f32_e32 v5, v8, v9
	s_branch .LBB44_3
.LBB44_6:
	s_endpgm
	.section	.rodata,"a",@progbits
	.p2align	6, 0x0
	.amdhsa_kernel _ZL25rocblas_symm_scale_kernelILi128ELi8EPK19rocblas_complex_numIfEPKPS1_EviiT1_T2_llli
		.amdhsa_group_segment_fixed_size 0
		.amdhsa_private_segment_fixed_size 0
		.amdhsa_kernarg_size 312
		.amdhsa_user_sgpr_count 6
		.amdhsa_user_sgpr_private_segment_buffer 1
		.amdhsa_user_sgpr_dispatch_ptr 0
		.amdhsa_user_sgpr_queue_ptr 0
		.amdhsa_user_sgpr_kernarg_segment_ptr 1
		.amdhsa_user_sgpr_dispatch_id 0
		.amdhsa_user_sgpr_flat_scratch_init 0
		.amdhsa_user_sgpr_kernarg_preload_length 0
		.amdhsa_user_sgpr_kernarg_preload_offset 0
		.amdhsa_user_sgpr_private_segment_size 0
		.amdhsa_uses_dynamic_stack 0
		.amdhsa_system_sgpr_private_segment_wavefront_offset 0
		.amdhsa_system_sgpr_workgroup_id_x 1
		.amdhsa_system_sgpr_workgroup_id_y 1
		.amdhsa_system_sgpr_workgroup_id_z 1
		.amdhsa_system_sgpr_workgroup_info 0
		.amdhsa_system_vgpr_workitem_id 1
		.amdhsa_next_free_vgpr 11
		.amdhsa_next_free_sgpr 20
		.amdhsa_accum_offset 12
		.amdhsa_reserve_vcc 1
		.amdhsa_reserve_flat_scratch 0
		.amdhsa_float_round_mode_32 0
		.amdhsa_float_round_mode_16_64 0
		.amdhsa_float_denorm_mode_32 3
		.amdhsa_float_denorm_mode_16_64 3
		.amdhsa_dx10_clamp 1
		.amdhsa_ieee_mode 1
		.amdhsa_fp16_overflow 0
		.amdhsa_tg_split 0
		.amdhsa_exception_fp_ieee_invalid_op 0
		.amdhsa_exception_fp_denorm_src 0
		.amdhsa_exception_fp_ieee_div_zero 0
		.amdhsa_exception_fp_ieee_overflow 0
		.amdhsa_exception_fp_ieee_underflow 0
		.amdhsa_exception_fp_ieee_inexact 0
		.amdhsa_exception_int_div_zero 0
	.end_amdhsa_kernel
	.section	.text._ZL25rocblas_symm_scale_kernelILi128ELi8EPK19rocblas_complex_numIfEPKPS1_EviiT1_T2_llli,"axG",@progbits,_ZL25rocblas_symm_scale_kernelILi128ELi8EPK19rocblas_complex_numIfEPKPS1_EviiT1_T2_llli,comdat
.Lfunc_end44:
	.size	_ZL25rocblas_symm_scale_kernelILi128ELi8EPK19rocblas_complex_numIfEPKPS1_EviiT1_T2_llli, .Lfunc_end44-_ZL25rocblas_symm_scale_kernelILi128ELi8EPK19rocblas_complex_numIfEPKPS1_EviiT1_T2_llli
                                        ; -- End function
	.section	.AMDGPU.csdata,"",@progbits
; Kernel info:
; codeLenInByte = 440
; NumSgprs: 24
; NumVgprs: 11
; NumAgprs: 0
; TotalNumVgprs: 11
; ScratchSize: 0
; MemoryBound: 0
; FloatMode: 240
; IeeeMode: 1
; LDSByteSize: 0 bytes/workgroup (compile time only)
; SGPRBlocks: 2
; VGPRBlocks: 1
; NumSGPRsForWavesPerEU: 24
; NumVGPRsForWavesPerEU: 11
; AccumOffset: 12
; Occupancy: 8
; WaveLimiterHint : 0
; COMPUTE_PGM_RSRC2:SCRATCH_EN: 0
; COMPUTE_PGM_RSRC2:USER_SGPR: 6
; COMPUTE_PGM_RSRC2:TRAP_HANDLER: 0
; COMPUTE_PGM_RSRC2:TGID_X_EN: 1
; COMPUTE_PGM_RSRC2:TGID_Y_EN: 1
; COMPUTE_PGM_RSRC2:TGID_Z_EN: 1
; COMPUTE_PGM_RSRC2:TIDIG_COMP_CNT: 1
; COMPUTE_PGM_RSRC3_GFX90A:ACCUM_OFFSET: 2
; COMPUTE_PGM_RSRC3_GFX90A:TG_SPLIT: 0
	.section	.text._ZL24rocblas_symm_hemm_kernelILb0ELb0ELi32EPK19rocblas_complex_numIfEPKS3_PKPS1_EvbiiT2_T3_lllSA_lllT4_llli,"axG",@progbits,_ZL24rocblas_symm_hemm_kernelILb0ELb0ELi32EPK19rocblas_complex_numIfEPKS3_PKPS1_EvbiiT2_T3_lllSA_lllT4_llli,comdat
	.globl	_ZL24rocblas_symm_hemm_kernelILb0ELb0ELi32EPK19rocblas_complex_numIfEPKS3_PKPS1_EvbiiT2_T3_lllSA_lllT4_llli ; -- Begin function _ZL24rocblas_symm_hemm_kernelILb0ELb0ELi32EPK19rocblas_complex_numIfEPKS3_PKPS1_EvbiiT2_T3_lllSA_lllT4_llli
	.p2align	8
	.type	_ZL24rocblas_symm_hemm_kernelILb0ELb0ELi32EPK19rocblas_complex_numIfEPKS3_PKPS1_EvbiiT2_T3_lllSA_lllT4_llli,@function
_ZL24rocblas_symm_hemm_kernelILb0ELb0ELi32EPK19rocblas_complex_numIfEPKS3_PKPS1_EvbiiT2_T3_lllSA_lllT4_llli: ; @_ZL24rocblas_symm_hemm_kernelILb0ELb0ELi32EPK19rocblas_complex_numIfEPKS3_PKPS1_EvbiiT2_T3_lllSA_lllT4_llli
; %bb.0:
	s_load_dwordx8 s[12:19], s[4:5], 0x10
	s_waitcnt lgkmcnt(0)
	s_load_dwordx2 s[10:11], s[12:13], 0x0
	s_waitcnt lgkmcnt(0)
	v_cmp_eq_f32_e64 s[0:1], s10, 0
	v_cmp_eq_f32_e64 s[2:3], s11, 0
	s_and_b64 s[0:1], s[0:1], s[2:3]
	s_and_b64 vcc, exec, s[0:1]
	s_cbranch_vccnz .LBB45_13
; %bb.1:
	s_load_dwordx4 s[20:23], s[4:5], 0x0
	s_waitcnt lgkmcnt(0)
	s_add_i32 s0, s22, -1
	s_ashr_i32 s1, s0, 31
	s_lshr_b32 s1, s1, 27
	s_add_i32 s0, s0, s1
	s_ashr_i32 s23, s0, 5
	s_cmp_gt_i32 s7, s23
	s_cbranch_scc1 .LBB45_13
; %bb.2:
	s_mov_b32 s9, 0
	s_lshl_b64 s[8:9], s[8:9], 3
	s_add_u32 s14, s14, s8
	s_addc_u32 s15, s15, s9
	s_load_dwordx2 s[24:25], s[14:15], 0x0
	s_load_dwordx4 s[0:3], s[4:5], 0x38
	s_load_dwordx2 s[12:13], s[4:5], 0x48
	s_lshl_b64 s[14:15], s[16:17], 3
	v_and_b32_e32 v12, 0x3ff, v0
	s_waitcnt lgkmcnt(0)
	s_add_u32 s26, s24, s14
	s_addc_u32 s27, s25, s15
	s_add_u32 s0, s0, s8
	s_addc_u32 s1, s1, s9
	s_load_dwordx2 s[16:17], s[0:1], 0x0
	s_load_dwordx4 s[36:39], s[4:5], 0x58
	s_load_dwordx2 s[14:15], s[4:5], 0x68
	s_lshl_b64 s[0:1], s[2:3], 3
	v_bfe_u32 v13, v0, 10, 10
	s_waitcnt lgkmcnt(0)
	s_add_u32 s28, s16, s0
	s_addc_u32 s29, s17, s1
	s_add_u32 s0, s36, s8
	s_addc_u32 s1, s37, s9
	s_load_dwordx2 s[2:3], s[0:1], 0x0
	v_lshl_add_u32 v8, s6, 5, v12
	s_bitcmp1_b32 s20, 0
	s_cselect_b64 s[0:1], -1, 0
	s_lshl_b64 s[8:9], s[38:39], 3
	v_lshlrev_b32_e32 v0, 3, v13
	v_lshlrev_b32_e32 v14, 8, v12
	v_ashrrev_i32_e32 v9, 31, v8
	s_waitcnt lgkmcnt(0)
	s_add_u32 s6, s2, s8
	v_add_u32_e32 v15, v14, v0
	v_or_b32_e32 v16, 0x2000, v0
	v_lshlrev_b64 v[0:1], 3, v[8:9]
	s_addc_u32 s8, s3, s9
	v_add_co_u32_e32 v9, vcc, s6, v0
	s_load_dword s6, s[4:5], 0x84
	s_cmp_gt_i32 s21, 0
	s_cselect_b64 s[4:5], -1, 0
	v_mov_b32_e32 v2, s8
	v_cndmask_b32_e64 v0, 0, 1, s[4:5]
	v_add_u32_e32 v17, v16, v14
	v_cmp_gt_i32_e64 s[2:3], s21, v8
	v_addc_co_u32_e32 v18, vcc, v2, v1, vcc
	v_cmp_ne_u32_e64 s[4:5], 1, v0
	v_add_u32_e32 v19, 0x800, v16
	v_add_u32_e32 v20, 0x1000, v16
	;; [unrolled: 1-line block ×3, first 2 shown]
	s_branch .LBB45_4
.LBB45_3:                               ;   in Loop: Header=BB45_4 Depth=1
	s_waitcnt lgkmcnt(0)
	s_add_i32 s7, s7, s6
	s_cmp_gt_i32 s7, s23
	s_cbranch_scc1 .LBB45_13
.LBB45_4:                               ; =>This Loop Header: Depth=1
                                        ;     Child Loop BB45_7 Depth 2
	s_and_b64 vcc, exec, s[4:5]
	s_cbranch_vccnz .LBB45_3
; %bb.5:                                ;   in Loop: Header=BB45_4 Depth=1
	v_lshl_add_u32 v2, s7, 5, v13
	v_ashrrev_i32_e32 v3, 31, v2
	v_mul_lo_u32 v4, v3, s12
	v_mul_lo_u32 v5, v2, s13
	v_mad_u64_u32 v[0:1], s[8:9], v2, s12, 0
	v_add3_u32 v1, v1, v5, v4
	v_lshlrev_b64 v[0:1], 3, v[0:1]
	v_mov_b32_e32 v4, s29
	v_add_co_u32_e64 v22, s[8:9], s28, v0
	v_addc_co_u32_e64 v23, s[8:9], v4, v1, s[8:9]
	v_mul_lo_u32 v3, v3, s14
	v_mul_lo_u32 v4, v2, s15
	v_mad_u64_u32 v[0:1], s[8:9], v2, s14, 0
	v_add3_u32 v1, v1, v4, v3
	v_lshlrev_b64 v[0:1], 3, v[0:1]
	v_cmp_gt_i32_e32 vcc, s22, v2
	v_add_co_u32_e64 v10, s[8:9], v9, v0
	s_and_b64 s[16:17], s[2:3], vcc
	v_addc_co_u32_e64 v11, s[8:9], v18, v1, s[8:9]
	s_mov_b32 s20, 0
	s_branch .LBB45_7
.LBB45_6:                               ;   in Loop: Header=BB45_7 Depth=2
	s_or_b64 exec, exec, s[8:9]
	s_add_i32 s20, s20, 32
	s_cmp_ge_i32 s20, s21
	s_barrier
	s_cbranch_scc1 .LBB45_3
.LBB45_7:                               ;   Parent Loop BB45_4 Depth=1
                                        ; =>  This Inner Loop Header: Depth=2
	v_add_u32_e32 v0, s20, v13
	v_cndmask_b32_e64 v1, v0, v8, s[0:1]
	v_cndmask_b32_e64 v2, v8, v0, s[0:1]
	v_cmp_gt_i32_e64 s[8:9], v1, v2
	v_cndmask_b32_e64 v2, v8, v0, s[8:9]
	v_cndmask_b32_e64 v1, v0, v8, s[8:9]
	v_max_i32_e32 v0, v2, v1
	v_cmp_gt_i32_e64 s[8:9], s21, v0
	v_mov_b32_e32 v0, 0
	v_mov_b32_e32 v4, 0
	;; [unrolled: 1-line block ×3, first 2 shown]
	s_and_saveexec_b64 s[24:25], s[8:9]
	s_cbranch_execz .LBB45_9
; %bb.8:                                ;   in Loop: Header=BB45_7 Depth=2
	v_ashrrev_i32_e32 v3, 31, v1
	v_mul_lo_u32 v6, v1, s19
	v_mul_lo_u32 v3, v3, s18
	v_mad_u64_u32 v[4:5], s[8:9], v1, s18, 0
	v_add3_u32 v5, v5, v6, v3
	v_lshlrev_b64 v[4:5], 3, v[4:5]
	v_ashrrev_i32_e32 v3, 31, v2
	v_mov_b32_e32 v1, s27
	v_add_co_u32_e64 v4, s[8:9], s26, v4
	v_addc_co_u32_e64 v1, s[8:9], v1, v5, s[8:9]
	v_lshlrev_b64 v[2:3], 3, v[2:3]
	v_add_co_u32_e64 v2, s[8:9], v4, v2
	v_addc_co_u32_e64 v3, s[8:9], v1, v3, s[8:9]
	global_load_dwordx2 v[4:5], v[2:3], off
.LBB45_9:                               ;   in Loop: Header=BB45_7 Depth=2
	s_or_b64 exec, exec, s[24:25]
	v_add_u32_e32 v2, s20, v12
	v_cmp_gt_i32_e64 s[8:9], s21, v2
	s_and_b64 s[8:9], s[8:9], vcc
	v_mov_b32_e32 v1, 0
	s_waitcnt vmcnt(0)
	ds_write_b64 v15, v[4:5]
	s_and_saveexec_b64 s[24:25], s[8:9]
	s_cbranch_execz .LBB45_11
; %bb.10:                               ;   in Loop: Header=BB45_7 Depth=2
	v_ashrrev_i32_e32 v3, 31, v2
	v_lshlrev_b64 v[0:1], 3, v[2:3]
	v_add_co_u32_e64 v0, s[8:9], v22, v0
	v_addc_co_u32_e64 v1, s[8:9], v23, v1, s[8:9]
	global_load_dwordx2 v[0:1], v[0:1], off
.LBB45_11:                              ;   in Loop: Header=BB45_7 Depth=2
	s_or_b64 exec, exec, s[24:25]
	s_waitcnt vmcnt(0)
	ds_write_b64 v17, v[0:1]
	s_waitcnt lgkmcnt(0)
	s_barrier
	s_and_saveexec_b64 s[8:9], s[16:17]
	s_cbranch_execz .LBB45_6
; %bb.12:                               ;   in Loop: Header=BB45_7 Depth=2
	ds_read2_b64 v[0:3], v16 offset1:32
	ds_read_b128 v[4:7], v14
	ds_read_b128 v[24:27], v14 offset:16
	ds_read_b128 v[28:31], v14 offset:32
	;; [unrolled: 1-line block ×3, first 2 shown]
	s_waitcnt lgkmcnt(3)
	v_mul_f32_e32 v36, v1, v5
	v_fma_f32 v36, v0, v4, -v36
	v_mul_f32_e32 v0, v0, v5
	v_fmac_f32_e32 v0, v1, v4
	v_add_f32_e32 v1, 0, v36
	ds_read2_b64 v[36:39], v16 offset0:64 offset1:96
	v_mul_f32_e32 v4, v3, v7
	v_fma_f32 v4, v2, v6, -v4
	v_mul_f32_e32 v2, v2, v7
	v_add_f32_e32 v0, 0, v0
	v_fmac_f32_e32 v2, v3, v6
	s_waitcnt lgkmcnt(0)
	v_mul_f32_e32 v3, v36, v25
	v_add_f32_e32 v0, v0, v2
	v_mul_f32_e32 v2, v37, v25
	v_fmac_f32_e32 v3, v37, v24
	v_add_f32_e32 v1, v1, v4
	v_fma_f32 v2, v36, v24, -v2
	v_add_f32_e32 v5, v0, v3
	v_mul_f32_e32 v0, v39, v27
	v_add_f32_e32 v4, v1, v2
	v_fma_f32 v6, v38, v26, -v0
	ds_read2_b64 v[0:3], v16 offset0:128 offset1:160
	v_mul_f32_e32 v7, v38, v27
	v_add_f32_e32 v4, v4, v6
	v_fmac_f32_e32 v7, v39, v26
	v_add_f32_e32 v5, v5, v7
	s_waitcnt lgkmcnt(0)
	v_mul_f32_e32 v6, v1, v29
	v_fma_f32 v6, v0, v28, -v6
	v_mul_f32_e32 v0, v0, v29
	v_fmac_f32_e32 v0, v1, v28
	v_add_f32_e32 v1, v4, v6
	v_mul_f32_e32 v4, v3, v31
	v_add_f32_e32 v0, v5, v0
	v_fma_f32 v24, v2, v30, -v4
	ds_read2_b64 v[4:7], v16 offset0:192 offset1:224
	v_mul_f32_e32 v2, v2, v31
	v_fmac_f32_e32 v2, v3, v30
	v_add_f32_e32 v0, v0, v2
	v_add_f32_e32 v1, v1, v24
	s_waitcnt lgkmcnt(0)
	v_mul_f32_e32 v3, v4, v33
	v_mul_f32_e32 v2, v5, v33
	v_fmac_f32_e32 v3, v5, v32
	v_fma_f32 v2, v4, v32, -v2
	v_add_f32_e32 v5, v0, v3
	v_mul_f32_e32 v0, v7, v35
	v_add_f32_e32 v4, v1, v2
	v_fma_f32 v28, v6, v34, -v0
	ds_read2_b64 v[0:3], v19 offset1:32
	ds_read_b128 v[24:27], v14 offset:64
	v_mul_f32_e32 v6, v6, v35
	v_fmac_f32_e32 v6, v7, v34
	v_add_f32_e32 v28, v4, v28
	v_add_f32_e32 v29, v5, v6
	s_waitcnt lgkmcnt(0)
	v_mul_f32_e32 v30, v1, v25
	v_fma_f32 v30, v0, v24, -v30
	v_mul_f32_e32 v0, v0, v25
	v_fmac_f32_e32 v0, v1, v24
	ds_read_b128 v[4:7], v14 offset:80
	v_add_f32_e32 v1, v28, v30
	v_add_f32_e32 v0, v29, v0
	ds_read2_b64 v[28:31], v19 offset0:64 offset1:96
	v_mul_f32_e32 v24, v3, v27
	v_fma_f32 v24, v2, v26, -v24
	v_mul_f32_e32 v2, v2, v27
	v_fmac_f32_e32 v2, v3, v26
	s_waitcnt lgkmcnt(0)
	v_mul_f32_e32 v3, v28, v5
	v_add_f32_e32 v0, v0, v2
	v_mul_f32_e32 v2, v29, v5
	v_fmac_f32_e32 v3, v29, v4
	v_add_f32_e32 v1, v1, v24
	v_fma_f32 v2, v28, v4, -v2
	v_add_f32_e32 v5, v0, v3
	v_mul_f32_e32 v0, v31, v7
	v_add_f32_e32 v4, v1, v2
	v_fma_f32 v28, v30, v6, -v0
	ds_read2_b64 v[0:3], v19 offset0:128 offset1:160
	ds_read_b128 v[24:27], v14 offset:96
	v_mul_f32_e32 v7, v30, v7
	v_fmac_f32_e32 v7, v31, v6
	v_add_f32_e32 v28, v4, v28
	v_add_f32_e32 v29, v5, v7
	s_waitcnt lgkmcnt(0)
	v_mul_f32_e32 v30, v1, v25
	v_fma_f32 v30, v0, v24, -v30
	v_mul_f32_e32 v0, v0, v25
	v_fmac_f32_e32 v0, v1, v24
	ds_read_b128 v[4:7], v14 offset:112
	v_add_f32_e32 v1, v28, v30
	v_add_f32_e32 v0, v29, v0
	ds_read2_b64 v[28:31], v19 offset0:192 offset1:224
	v_mul_f32_e32 v24, v3, v27
	v_fma_f32 v24, v2, v26, -v24
	v_mul_f32_e32 v2, v2, v27
	v_fmac_f32_e32 v2, v3, v26
	s_waitcnt lgkmcnt(0)
	v_mul_f32_e32 v3, v28, v5
	v_add_f32_e32 v0, v0, v2
	v_mul_f32_e32 v2, v29, v5
	v_fmac_f32_e32 v3, v29, v4
	v_add_f32_e32 v1, v1, v24
	v_fma_f32 v2, v28, v4, -v2
	v_add_f32_e32 v5, v0, v3
	v_mul_f32_e32 v0, v31, v7
	v_add_f32_e32 v4, v1, v2
	v_fma_f32 v28, v30, v6, -v0
	ds_read2_b64 v[0:3], v20 offset1:32
	ds_read_b128 v[24:27], v14 offset:128
	v_mul_f32_e32 v7, v30, v7
	v_fmac_f32_e32 v7, v31, v6
	v_add_f32_e32 v4, v4, v28
	ds_read_b128 v[28:31], v14 offset:144
	ds_read2_b64 v[32:35], v20 offset0:64 offset1:96
	s_waitcnt lgkmcnt(2)
	v_mul_f32_e32 v6, v1, v25
	v_fma_f32 v6, v0, v24, -v6
	v_mul_f32_e32 v0, v0, v25
	v_fmac_f32_e32 v0, v1, v24
	v_add_f32_e32 v1, v4, v6
	v_mul_f32_e32 v4, v3, v27
	v_add_f32_e32 v5, v5, v7
	v_fma_f32 v4, v2, v26, -v4
	v_mul_f32_e32 v2, v2, v27
	v_add_f32_e32 v0, v5, v0
	v_fmac_f32_e32 v2, v3, v26
	s_waitcnt lgkmcnt(0)
	v_mul_f32_e32 v3, v32, v29
	v_add_f32_e32 v0, v0, v2
	v_mul_f32_e32 v2, v33, v29
	v_fmac_f32_e32 v3, v33, v28
	v_add_f32_e32 v1, v1, v4
	v_fma_f32 v2, v32, v28, -v2
	v_add_f32_e32 v25, v0, v3
	v_mul_f32_e32 v0, v35, v31
	v_add_f32_e32 v24, v1, v2
	v_fma_f32 v26, v34, v30, -v0
	ds_read2_b64 v[0:3], v20 offset0:128 offset1:160
	ds_read_b128 v[4:7], v14 offset:160
	global_load_dwordx2 v[32:33], v[10:11], off
	v_mul_f32_e32 v27, v34, v31
	v_fmac_f32_e32 v27, v35, v30
	v_add_f32_e32 v28, v24, v26
	s_waitcnt lgkmcnt(0)
	v_mul_f32_e32 v30, v1, v5
	v_fma_f32 v30, v0, v4, -v30
	v_mul_f32_e32 v0, v0, v5
	v_add_f32_e32 v29, v25, v27
	v_fmac_f32_e32 v0, v1, v4
	ds_read_b128 v[24:27], v14 offset:176
	v_add_f32_e32 v1, v28, v30
	v_add_f32_e32 v0, v29, v0
	ds_read2_b64 v[28:31], v20 offset0:192 offset1:224
	v_mul_f32_e32 v4, v3, v7
	v_fma_f32 v4, v2, v6, -v4
	v_mul_f32_e32 v2, v2, v7
	v_fmac_f32_e32 v2, v3, v6
	s_waitcnt lgkmcnt(0)
	v_mul_f32_e32 v3, v28, v25
	v_add_f32_e32 v0, v0, v2
	v_mul_f32_e32 v2, v29, v25
	v_fmac_f32_e32 v3, v29, v24
	v_add_f32_e32 v1, v1, v4
	v_fma_f32 v2, v28, v24, -v2
	v_add_f32_e32 v25, v0, v3
	v_mul_f32_e32 v0, v31, v27
	v_add_f32_e32 v24, v1, v2
	v_fma_f32 v28, v30, v26, -v0
	ds_read2_b64 v[0:3], v21 offset1:32
	ds_read_b128 v[4:7], v14 offset:192
	v_mul_f32_e32 v27, v30, v27
	v_fmac_f32_e32 v27, v31, v26
	v_add_f32_e32 v28, v24, v28
	v_add_f32_e32 v29, v25, v27
	s_waitcnt lgkmcnt(0)
	v_mul_f32_e32 v30, v1, v5
	v_fma_f32 v30, v0, v4, -v30
	v_mul_f32_e32 v0, v0, v5
	v_fmac_f32_e32 v0, v1, v4
	ds_read_b128 v[24:27], v14 offset:208
	v_add_f32_e32 v1, v28, v30
	v_add_f32_e32 v0, v29, v0
	ds_read2_b64 v[28:31], v21 offset0:64 offset1:96
	v_mul_f32_e32 v4, v3, v7
	v_fma_f32 v4, v2, v6, -v4
	v_mul_f32_e32 v2, v2, v7
	v_fmac_f32_e32 v2, v3, v6
	s_waitcnt lgkmcnt(0)
	v_mul_f32_e32 v3, v28, v25
	v_add_f32_e32 v0, v0, v2
	v_mul_f32_e32 v2, v29, v25
	v_fmac_f32_e32 v3, v29, v24
	v_add_f32_e32 v1, v1, v4
	v_fma_f32 v2, v28, v24, -v2
	v_add_f32_e32 v25, v0, v3
	v_mul_f32_e32 v0, v31, v27
	v_add_f32_e32 v24, v1, v2
	v_fma_f32 v28, v30, v26, -v0
	ds_read2_b64 v[0:3], v21 offset0:128 offset1:160
	ds_read_b128 v[4:7], v14 offset:224
	v_mul_f32_e32 v27, v30, v27
	v_fmac_f32_e32 v27, v31, v26
	v_add_f32_e32 v28, v24, v28
	v_add_f32_e32 v29, v25, v27
	s_waitcnt lgkmcnt(0)
	v_mul_f32_e32 v30, v1, v5
	v_fma_f32 v30, v0, v4, -v30
	v_mul_f32_e32 v0, v0, v5
	v_fmac_f32_e32 v0, v1, v4
	ds_read_b128 v[24:27], v14 offset:240
	v_add_f32_e32 v1, v28, v30
	v_add_f32_e32 v0, v29, v0
	ds_read2_b64 v[28:31], v21 offset0:192 offset1:224
	v_mul_f32_e32 v4, v3, v7
	v_fma_f32 v4, v2, v6, -v4
	v_mul_f32_e32 v2, v2, v7
	v_fmac_f32_e32 v2, v3, v6
	v_add_f32_e32 v0, v0, v2
	s_waitcnt lgkmcnt(0)
	v_mul_f32_e32 v2, v29, v25
	v_mul_f32_e32 v3, v28, v25
	v_add_f32_e32 v1, v1, v4
	v_fma_f32 v2, v28, v24, -v2
	v_fmac_f32_e32 v3, v29, v24
	v_add_f32_e32 v1, v1, v2
	v_add_f32_e32 v2, v0, v3
	v_mul_f32_e32 v3, v30, v27
	v_mul_f32_e32 v0, v31, v27
	v_fmac_f32_e32 v3, v31, v26
	v_fma_f32 v0, v30, v26, -v0
	v_add_f32_e32 v2, v2, v3
	v_add_f32_e32 v0, v1, v0
	v_pk_mul_f32 v[2:3], s[10:11], v[2:3] op_sel_hi:[1,0]
	v_pk_fma_f32 v[4:5], s[10:11], v[0:1], v[2:3] op_sel:[0,0,1] op_sel_hi:[1,1,0] neg_lo:[0,0,1] neg_hi:[0,0,1]
	v_pk_fma_f32 v[0:1], s[10:11], v[0:1], v[2:3] op_sel:[0,0,1] op_sel_hi:[1,0,0]
	v_mov_b32_e32 v5, v1
	s_waitcnt vmcnt(0)
	v_pk_add_f32 v[0:1], v[32:33], v[4:5]
	global_store_dwordx2 v[10:11], v[0:1], off
	s_branch .LBB45_6
.LBB45_13:
	s_endpgm
	.section	.rodata,"a",@progbits
	.p2align	6, 0x0
	.amdhsa_kernel _ZL24rocblas_symm_hemm_kernelILb0ELb0ELi32EPK19rocblas_complex_numIfEPKS3_PKPS1_EvbiiT2_T3_lllSA_lllT4_llli
		.amdhsa_group_segment_fixed_size 16384
		.amdhsa_private_segment_fixed_size 0
		.amdhsa_kernarg_size 384
		.amdhsa_user_sgpr_count 6
		.amdhsa_user_sgpr_private_segment_buffer 1
		.amdhsa_user_sgpr_dispatch_ptr 0
		.amdhsa_user_sgpr_queue_ptr 0
		.amdhsa_user_sgpr_kernarg_segment_ptr 1
		.amdhsa_user_sgpr_dispatch_id 0
		.amdhsa_user_sgpr_flat_scratch_init 0
		.amdhsa_user_sgpr_kernarg_preload_length 0
		.amdhsa_user_sgpr_kernarg_preload_offset 0
		.amdhsa_user_sgpr_private_segment_size 0
		.amdhsa_uses_dynamic_stack 0
		.amdhsa_system_sgpr_private_segment_wavefront_offset 0
		.amdhsa_system_sgpr_workgroup_id_x 1
		.amdhsa_system_sgpr_workgroup_id_y 1
		.amdhsa_system_sgpr_workgroup_id_z 1
		.amdhsa_system_sgpr_workgroup_info 0
		.amdhsa_system_vgpr_workitem_id 1
		.amdhsa_next_free_vgpr 40
		.amdhsa_next_free_sgpr 40
		.amdhsa_accum_offset 40
		.amdhsa_reserve_vcc 1
		.amdhsa_reserve_flat_scratch 0
		.amdhsa_float_round_mode_32 0
		.amdhsa_float_round_mode_16_64 0
		.amdhsa_float_denorm_mode_32 3
		.amdhsa_float_denorm_mode_16_64 3
		.amdhsa_dx10_clamp 1
		.amdhsa_ieee_mode 1
		.amdhsa_fp16_overflow 0
		.amdhsa_tg_split 0
		.amdhsa_exception_fp_ieee_invalid_op 0
		.amdhsa_exception_fp_denorm_src 0
		.amdhsa_exception_fp_ieee_div_zero 0
		.amdhsa_exception_fp_ieee_overflow 0
		.amdhsa_exception_fp_ieee_underflow 0
		.amdhsa_exception_fp_ieee_inexact 0
		.amdhsa_exception_int_div_zero 0
	.end_amdhsa_kernel
	.section	.text._ZL24rocblas_symm_hemm_kernelILb0ELb0ELi32EPK19rocblas_complex_numIfEPKS3_PKPS1_EvbiiT2_T3_lllSA_lllT4_llli,"axG",@progbits,_ZL24rocblas_symm_hemm_kernelILb0ELb0ELi32EPK19rocblas_complex_numIfEPKS3_PKPS1_EvbiiT2_T3_lllSA_lllT4_llli,comdat
.Lfunc_end45:
	.size	_ZL24rocblas_symm_hemm_kernelILb0ELb0ELi32EPK19rocblas_complex_numIfEPKS3_PKPS1_EvbiiT2_T3_lllSA_lllT4_llli, .Lfunc_end45-_ZL24rocblas_symm_hemm_kernelILb0ELb0ELi32EPK19rocblas_complex_numIfEPKS3_PKPS1_EvbiiT2_T3_lllSA_lllT4_llli
                                        ; -- End function
	.section	.AMDGPU.csdata,"",@progbits
; Kernel info:
; codeLenInByte = 2132
; NumSgprs: 44
; NumVgprs: 40
; NumAgprs: 0
; TotalNumVgprs: 40
; ScratchSize: 0
; MemoryBound: 0
; FloatMode: 240
; IeeeMode: 1
; LDSByteSize: 16384 bytes/workgroup (compile time only)
; SGPRBlocks: 5
; VGPRBlocks: 4
; NumSGPRsForWavesPerEU: 44
; NumVGPRsForWavesPerEU: 40
; AccumOffset: 40
; Occupancy: 8
; WaveLimiterHint : 1
; COMPUTE_PGM_RSRC2:SCRATCH_EN: 0
; COMPUTE_PGM_RSRC2:USER_SGPR: 6
; COMPUTE_PGM_RSRC2:TRAP_HANDLER: 0
; COMPUTE_PGM_RSRC2:TGID_X_EN: 1
; COMPUTE_PGM_RSRC2:TGID_Y_EN: 1
; COMPUTE_PGM_RSRC2:TGID_Z_EN: 1
; COMPUTE_PGM_RSRC2:TIDIG_COMP_CNT: 1
; COMPUTE_PGM_RSRC3_GFX90A:ACCUM_OFFSET: 9
; COMPUTE_PGM_RSRC3_GFX90A:TG_SPLIT: 0
	.section	.text._ZL24rocblas_symm_hemm_kernelILb0ELb1ELi32EPK19rocblas_complex_numIfEPKS3_PKPS1_EvbiiT2_T3_lllSA_lllT4_llli,"axG",@progbits,_ZL24rocblas_symm_hemm_kernelILb0ELb1ELi32EPK19rocblas_complex_numIfEPKS3_PKPS1_EvbiiT2_T3_lllSA_lllT4_llli,comdat
	.globl	_ZL24rocblas_symm_hemm_kernelILb0ELb1ELi32EPK19rocblas_complex_numIfEPKS3_PKPS1_EvbiiT2_T3_lllSA_lllT4_llli ; -- Begin function _ZL24rocblas_symm_hemm_kernelILb0ELb1ELi32EPK19rocblas_complex_numIfEPKS3_PKPS1_EvbiiT2_T3_lllSA_lllT4_llli
	.p2align	8
	.type	_ZL24rocblas_symm_hemm_kernelILb0ELb1ELi32EPK19rocblas_complex_numIfEPKS3_PKPS1_EvbiiT2_T3_lllSA_lllT4_llli,@function
_ZL24rocblas_symm_hemm_kernelILb0ELb1ELi32EPK19rocblas_complex_numIfEPKS3_PKPS1_EvbiiT2_T3_lllSA_lllT4_llli: ; @_ZL24rocblas_symm_hemm_kernelILb0ELb1ELi32EPK19rocblas_complex_numIfEPKS3_PKPS1_EvbiiT2_T3_lllSA_lllT4_llli
; %bb.0:
	s_load_dwordx8 s[12:19], s[4:5], 0x10
	s_waitcnt lgkmcnt(0)
	s_load_dwordx2 s[10:11], s[12:13], 0x0
	s_waitcnt lgkmcnt(0)
	v_cmp_eq_f32_e64 s[0:1], s10, 0
	v_cmp_eq_f32_e64 s[2:3], s11, 0
	s_and_b64 s[0:1], s[0:1], s[2:3]
	s_and_b64 vcc, exec, s[0:1]
	s_cbranch_vccnz .LBB46_13
; %bb.1:
	s_load_dwordx4 s[20:23], s[4:5], 0x0
	s_waitcnt lgkmcnt(0)
	s_add_i32 s0, s22, -1
	s_ashr_i32 s1, s0, 31
	s_lshr_b32 s1, s1, 27
	s_add_i32 s0, s0, s1
	s_ashr_i32 s23, s0, 5
	s_cmp_gt_i32 s7, s23
	s_cbranch_scc1 .LBB46_13
; %bb.2:
	s_mov_b32 s9, 0
	s_lshl_b64 s[26:27], s[8:9], 3
	s_add_u32 s14, s14, s26
	s_addc_u32 s15, s15, s27
	s_load_dwordx2 s[24:25], s[14:15], 0x0
	s_load_dwordx4 s[0:3], s[4:5], 0x38
	s_load_dwordx2 s[8:9], s[4:5], 0x48
	s_load_dwordx4 s[28:31], s[4:5], 0x58
	s_load_dwordx2 s[12:13], s[4:5], 0x68
	s_lshl_b64 s[14:15], s[16:17], 3
	s_waitcnt lgkmcnt(0)
	s_add_u32 s24, s24, s14
	s_addc_u32 s25, s25, s15
	s_add_u32 s0, s0, s26
	s_addc_u32 s1, s1, s27
	;; [unrolled: 2-line block ×3, first 2 shown]
	s_load_dwordx2 s[16:17], s[14:15], 0x0
	s_load_dwordx2 s[26:27], s[0:1], 0x0
	s_bitcmp1_b32 s20, 0
	s_cselect_b64 s[0:1], -1, 0
	s_lshl_b64 s[14:15], s[30:31], 3
	s_waitcnt lgkmcnt(0)
	s_add_u32 s14, s16, s14
	v_and_b32_e32 v10, 0x3ff, v0
	s_addc_u32 s15, s17, s15
	s_lshl_b64 s[2:3], s[2:3], 3
	v_lshl_add_u32 v2, s6, 5, v10
	s_add_u32 s16, s26, s2
	v_ashrrev_i32_e32 v3, 31, v2
	s_addc_u32 s17, s27, s3
	v_bfe_u32 v11, v0, 10, 10
	v_lshlrev_b64 v[0:1], 3, v[2:3]
	s_load_dword s6, s[4:5], 0x84
	s_cmp_gt_i32 s22, 0
	v_cmp_gt_i32_e64 s[2:3], s21, v2
	v_mov_b32_e32 v2, s17
	v_add_co_u32_e32 v12, vcc, s16, v0
	v_addc_co_u32_e32 v13, vcc, v2, v1, vcc
	v_lshlrev_b32_e32 v2, 3, v11
	v_lshlrev_b32_e32 v14, 8, v10
	s_cselect_b64 s[4:5], -1, 0
	v_add_u32_e32 v15, v14, v2
	v_or_b32_e32 v16, 0x2000, v2
	v_mov_b32_e32 v2, s15
	v_add_co_u32_e32 v18, vcc, s14, v0
	v_cndmask_b32_e64 v0, 0, 1, s[4:5]
	v_add_u32_e32 v17, v16, v14
	v_addc_co_u32_e32 v19, vcc, v2, v1, vcc
	v_cmp_ne_u32_e64 s[4:5], 1, v0
	v_add_u32_e32 v20, 0x800, v16
	v_add_u32_e32 v21, 0x1000, v16
	;; [unrolled: 1-line block ×3, first 2 shown]
	s_branch .LBB46_4
.LBB46_3:                               ;   in Loop: Header=BB46_4 Depth=1
	s_waitcnt lgkmcnt(0)
	s_add_i32 s7, s7, s6
	s_cmp_gt_i32 s7, s23
	s_cbranch_scc1 .LBB46_13
.LBB46_4:                               ; =>This Loop Header: Depth=1
                                        ;     Child Loop BB46_7 Depth 2
	s_and_b64 vcc, exec, s[4:5]
	s_cbranch_vccnz .LBB46_3
; %bb.5:                                ;   in Loop: Header=BB46_4 Depth=1
	v_lshl_add_u32 v23, s7, 5, v11
	v_ashrrev_i32_e32 v0, 31, v23
	v_mul_lo_u32 v2, v0, s12
	v_mul_lo_u32 v3, v23, s13
	v_mad_u64_u32 v[0:1], s[16:17], v23, s12, 0
	v_add3_u32 v1, v1, v3, v2
	v_cmp_gt_i32_e32 vcc, s22, v23
	v_lshlrev_b64 v[0:1], 3, v[0:1]
	s_and_b64 s[14:15], s[2:3], vcc
	v_add_co_u32_e32 v8, vcc, v18, v0
	v_addc_co_u32_e32 v9, vcc, v19, v1, vcc
	s_mov_b32 s20, 0
	s_branch .LBB46_7
.LBB46_6:                               ;   in Loop: Header=BB46_7 Depth=2
	s_or_b64 exec, exec, s[16:17]
	s_add_i32 s20, s20, 32
	s_cmp_ge_i32 s20, s22
	s_barrier
	s_cbranch_scc1 .LBB46_3
.LBB46_7:                               ;   Parent Loop BB46_4 Depth=1
                                        ; =>  This Inner Loop Header: Depth=2
	v_add_u32_e32 v1, s20, v11
	v_cmp_gt_i32_e32 vcc, s22, v1
	s_and_b64 s[26:27], s[2:3], vcc
	v_mov_b32_e32 v0, 0
	v_mov_b32_e32 v2, 0
	;; [unrolled: 1-line block ×3, first 2 shown]
	s_and_saveexec_b64 s[16:17], s[26:27]
	s_cbranch_execz .LBB46_9
; %bb.8:                                ;   in Loop: Header=BB46_7 Depth=2
	v_ashrrev_i32_e32 v2, 31, v1
	v_mul_lo_u32 v4, v1, s9
	v_mul_lo_u32 v5, v2, s8
	v_mad_u64_u32 v[2:3], s[26:27], v1, s8, 0
	v_add3_u32 v3, v3, v4, v5
	v_lshlrev_b64 v[2:3], 3, v[2:3]
	v_add_co_u32_e32 v2, vcc, v12, v2
	v_addc_co_u32_e32 v3, vcc, v13, v3, vcc
	global_load_dwordx2 v[2:3], v[2:3], off
.LBB46_9:                               ;   in Loop: Header=BB46_7 Depth=2
	s_or_b64 exec, exec, s[16:17]
	v_add_u32_e32 v1, s20, v10
	s_waitcnt vmcnt(0)
	ds_write_b64 v15, v[2:3]
	v_cndmask_b32_e64 v2, v23, v1, s[0:1]
	v_cndmask_b32_e64 v3, v1, v23, s[0:1]
	v_cmp_gt_i32_e32 vcc, v2, v3
	v_cndmask_b32_e32 v2, v1, v23, vcc
	v_cndmask_b32_e32 v3, v23, v1, vcc
	v_max_i32_e32 v1, v2, v3
	v_cmp_gt_i32_e32 vcc, s22, v1
	v_mov_b32_e32 v1, 0
	s_and_saveexec_b64 s[16:17], vcc
	s_cbranch_execz .LBB46_11
; %bb.10:                               ;   in Loop: Header=BB46_7 Depth=2
	v_ashrrev_i32_e32 v0, 31, v3
	v_mul_lo_u32 v4, v3, s19
	v_mul_lo_u32 v5, v0, s18
	v_mad_u64_u32 v[0:1], s[26:27], v3, s18, 0
	v_add3_u32 v1, v1, v4, v5
	v_lshlrev_b64 v[0:1], 3, v[0:1]
	v_ashrrev_i32_e32 v3, 31, v2
	v_mov_b32_e32 v4, s25
	v_add_co_u32_e32 v5, vcc, s24, v0
	v_addc_co_u32_e32 v4, vcc, v4, v1, vcc
	v_lshlrev_b64 v[0:1], 3, v[2:3]
	v_add_co_u32_e32 v0, vcc, v5, v0
	v_addc_co_u32_e32 v1, vcc, v4, v1, vcc
	global_load_dwordx2 v[0:1], v[0:1], off
.LBB46_11:                              ;   in Loop: Header=BB46_7 Depth=2
	s_or_b64 exec, exec, s[16:17]
	s_waitcnt vmcnt(0)
	ds_write_b64 v17, v[0:1]
	s_waitcnt lgkmcnt(0)
	s_barrier
	s_and_saveexec_b64 s[16:17], s[14:15]
	s_cbranch_execz .LBB46_6
; %bb.12:                               ;   in Loop: Header=BB46_7 Depth=2
	ds_read2_b64 v[0:3], v16 offset1:32
	ds_read_b128 v[4:7], v14
	ds_read_b128 v[24:27], v14 offset:16
	ds_read_b128 v[28:31], v14 offset:32
	;; [unrolled: 1-line block ×3, first 2 shown]
	s_waitcnt lgkmcnt(3)
	v_mul_f32_e32 v36, v1, v5
	v_fma_f32 v36, v0, v4, -v36
	v_mul_f32_e32 v0, v0, v5
	v_fmac_f32_e32 v0, v1, v4
	v_add_f32_e32 v1, 0, v36
	ds_read2_b64 v[36:39], v16 offset0:64 offset1:96
	v_mul_f32_e32 v4, v3, v7
	v_fma_f32 v4, v2, v6, -v4
	v_mul_f32_e32 v2, v2, v7
	v_add_f32_e32 v0, 0, v0
	v_fmac_f32_e32 v2, v3, v6
	s_waitcnt lgkmcnt(0)
	v_mul_f32_e32 v3, v36, v25
	v_add_f32_e32 v0, v0, v2
	v_mul_f32_e32 v2, v37, v25
	v_fmac_f32_e32 v3, v37, v24
	v_add_f32_e32 v1, v1, v4
	v_fma_f32 v2, v36, v24, -v2
	v_add_f32_e32 v5, v0, v3
	v_mul_f32_e32 v0, v39, v27
	v_add_f32_e32 v4, v1, v2
	v_fma_f32 v6, v38, v26, -v0
	ds_read2_b64 v[0:3], v16 offset0:128 offset1:160
	v_mul_f32_e32 v7, v38, v27
	v_add_f32_e32 v4, v4, v6
	v_fmac_f32_e32 v7, v39, v26
	v_add_f32_e32 v5, v5, v7
	s_waitcnt lgkmcnt(0)
	v_mul_f32_e32 v6, v1, v29
	v_fma_f32 v6, v0, v28, -v6
	v_mul_f32_e32 v0, v0, v29
	v_fmac_f32_e32 v0, v1, v28
	v_add_f32_e32 v1, v4, v6
	v_mul_f32_e32 v4, v3, v31
	v_add_f32_e32 v0, v5, v0
	v_fma_f32 v24, v2, v30, -v4
	ds_read2_b64 v[4:7], v16 offset0:192 offset1:224
	v_mul_f32_e32 v2, v2, v31
	v_fmac_f32_e32 v2, v3, v30
	v_add_f32_e32 v0, v0, v2
	v_add_f32_e32 v1, v1, v24
	s_waitcnt lgkmcnt(0)
	v_mul_f32_e32 v3, v4, v33
	v_mul_f32_e32 v2, v5, v33
	v_fmac_f32_e32 v3, v5, v32
	v_fma_f32 v2, v4, v32, -v2
	v_add_f32_e32 v5, v0, v3
	v_mul_f32_e32 v0, v7, v35
	v_add_f32_e32 v4, v1, v2
	v_fma_f32 v28, v6, v34, -v0
	ds_read2_b64 v[0:3], v20 offset1:32
	ds_read_b128 v[24:27], v14 offset:64
	v_mul_f32_e32 v6, v6, v35
	v_fmac_f32_e32 v6, v7, v34
	v_add_f32_e32 v28, v4, v28
	v_add_f32_e32 v29, v5, v6
	s_waitcnt lgkmcnt(0)
	v_mul_f32_e32 v30, v1, v25
	v_fma_f32 v30, v0, v24, -v30
	v_mul_f32_e32 v0, v0, v25
	v_fmac_f32_e32 v0, v1, v24
	ds_read_b128 v[4:7], v14 offset:80
	v_add_f32_e32 v1, v28, v30
	v_add_f32_e32 v0, v29, v0
	ds_read2_b64 v[28:31], v20 offset0:64 offset1:96
	v_mul_f32_e32 v24, v3, v27
	v_fma_f32 v24, v2, v26, -v24
	v_mul_f32_e32 v2, v2, v27
	v_fmac_f32_e32 v2, v3, v26
	s_waitcnt lgkmcnt(0)
	v_mul_f32_e32 v3, v28, v5
	v_add_f32_e32 v0, v0, v2
	v_mul_f32_e32 v2, v29, v5
	v_fmac_f32_e32 v3, v29, v4
	v_add_f32_e32 v1, v1, v24
	v_fma_f32 v2, v28, v4, -v2
	v_add_f32_e32 v5, v0, v3
	v_mul_f32_e32 v0, v31, v7
	v_add_f32_e32 v4, v1, v2
	v_fma_f32 v28, v30, v6, -v0
	ds_read2_b64 v[0:3], v20 offset0:128 offset1:160
	ds_read_b128 v[24:27], v14 offset:96
	v_mul_f32_e32 v7, v30, v7
	v_fmac_f32_e32 v7, v31, v6
	v_add_f32_e32 v28, v4, v28
	v_add_f32_e32 v29, v5, v7
	s_waitcnt lgkmcnt(0)
	v_mul_f32_e32 v30, v1, v25
	v_fma_f32 v30, v0, v24, -v30
	v_mul_f32_e32 v0, v0, v25
	v_fmac_f32_e32 v0, v1, v24
	ds_read_b128 v[4:7], v14 offset:112
	v_add_f32_e32 v1, v28, v30
	v_add_f32_e32 v0, v29, v0
	ds_read2_b64 v[28:31], v20 offset0:192 offset1:224
	v_mul_f32_e32 v24, v3, v27
	v_fma_f32 v24, v2, v26, -v24
	v_mul_f32_e32 v2, v2, v27
	v_fmac_f32_e32 v2, v3, v26
	s_waitcnt lgkmcnt(0)
	v_mul_f32_e32 v3, v28, v5
	v_add_f32_e32 v0, v0, v2
	v_mul_f32_e32 v2, v29, v5
	v_fmac_f32_e32 v3, v29, v4
	v_add_f32_e32 v1, v1, v24
	v_fma_f32 v2, v28, v4, -v2
	v_add_f32_e32 v5, v0, v3
	v_mul_f32_e32 v0, v31, v7
	v_add_f32_e32 v4, v1, v2
	v_fma_f32 v28, v30, v6, -v0
	ds_read2_b64 v[0:3], v21 offset1:32
	ds_read_b128 v[24:27], v14 offset:128
	v_mul_f32_e32 v7, v30, v7
	v_fmac_f32_e32 v7, v31, v6
	v_add_f32_e32 v4, v4, v28
	ds_read_b128 v[28:31], v14 offset:144
	ds_read2_b64 v[32:35], v21 offset0:64 offset1:96
	s_waitcnt lgkmcnt(2)
	v_mul_f32_e32 v6, v1, v25
	v_fma_f32 v6, v0, v24, -v6
	v_mul_f32_e32 v0, v0, v25
	v_fmac_f32_e32 v0, v1, v24
	v_add_f32_e32 v1, v4, v6
	v_mul_f32_e32 v4, v3, v27
	v_add_f32_e32 v5, v5, v7
	v_fma_f32 v4, v2, v26, -v4
	v_mul_f32_e32 v2, v2, v27
	v_add_f32_e32 v0, v5, v0
	v_fmac_f32_e32 v2, v3, v26
	s_waitcnt lgkmcnt(0)
	v_mul_f32_e32 v3, v32, v29
	v_add_f32_e32 v0, v0, v2
	v_mul_f32_e32 v2, v33, v29
	v_fmac_f32_e32 v3, v33, v28
	v_add_f32_e32 v1, v1, v4
	v_fma_f32 v2, v32, v28, -v2
	v_add_f32_e32 v25, v0, v3
	v_mul_f32_e32 v0, v35, v31
	v_add_f32_e32 v24, v1, v2
	v_fma_f32 v26, v34, v30, -v0
	ds_read2_b64 v[0:3], v21 offset0:128 offset1:160
	ds_read_b128 v[4:7], v14 offset:160
	global_load_dwordx2 v[32:33], v[8:9], off
	v_mul_f32_e32 v27, v34, v31
	v_fmac_f32_e32 v27, v35, v30
	v_add_f32_e32 v28, v24, v26
	s_waitcnt lgkmcnt(0)
	v_mul_f32_e32 v30, v1, v5
	v_fma_f32 v30, v0, v4, -v30
	v_mul_f32_e32 v0, v0, v5
	v_add_f32_e32 v29, v25, v27
	v_fmac_f32_e32 v0, v1, v4
	ds_read_b128 v[24:27], v14 offset:176
	v_add_f32_e32 v1, v28, v30
	v_add_f32_e32 v0, v29, v0
	ds_read2_b64 v[28:31], v21 offset0:192 offset1:224
	v_mul_f32_e32 v4, v3, v7
	v_fma_f32 v4, v2, v6, -v4
	v_mul_f32_e32 v2, v2, v7
	v_fmac_f32_e32 v2, v3, v6
	s_waitcnt lgkmcnt(0)
	v_mul_f32_e32 v3, v28, v25
	v_add_f32_e32 v0, v0, v2
	v_mul_f32_e32 v2, v29, v25
	v_fmac_f32_e32 v3, v29, v24
	v_add_f32_e32 v1, v1, v4
	v_fma_f32 v2, v28, v24, -v2
	v_add_f32_e32 v25, v0, v3
	v_mul_f32_e32 v0, v31, v27
	v_add_f32_e32 v24, v1, v2
	v_fma_f32 v28, v30, v26, -v0
	ds_read2_b64 v[0:3], v22 offset1:32
	ds_read_b128 v[4:7], v14 offset:192
	v_mul_f32_e32 v27, v30, v27
	v_fmac_f32_e32 v27, v31, v26
	v_add_f32_e32 v28, v24, v28
	v_add_f32_e32 v29, v25, v27
	s_waitcnt lgkmcnt(0)
	v_mul_f32_e32 v30, v1, v5
	v_fma_f32 v30, v0, v4, -v30
	v_mul_f32_e32 v0, v0, v5
	v_fmac_f32_e32 v0, v1, v4
	ds_read_b128 v[24:27], v14 offset:208
	v_add_f32_e32 v1, v28, v30
	v_add_f32_e32 v0, v29, v0
	ds_read2_b64 v[28:31], v22 offset0:64 offset1:96
	v_mul_f32_e32 v4, v3, v7
	v_fma_f32 v4, v2, v6, -v4
	v_mul_f32_e32 v2, v2, v7
	v_fmac_f32_e32 v2, v3, v6
	s_waitcnt lgkmcnt(0)
	v_mul_f32_e32 v3, v28, v25
	v_add_f32_e32 v0, v0, v2
	v_mul_f32_e32 v2, v29, v25
	v_fmac_f32_e32 v3, v29, v24
	v_add_f32_e32 v1, v1, v4
	v_fma_f32 v2, v28, v24, -v2
	v_add_f32_e32 v25, v0, v3
	v_mul_f32_e32 v0, v31, v27
	v_add_f32_e32 v24, v1, v2
	v_fma_f32 v28, v30, v26, -v0
	ds_read2_b64 v[0:3], v22 offset0:128 offset1:160
	ds_read_b128 v[4:7], v14 offset:224
	v_mul_f32_e32 v27, v30, v27
	v_fmac_f32_e32 v27, v31, v26
	v_add_f32_e32 v28, v24, v28
	v_add_f32_e32 v29, v25, v27
	s_waitcnt lgkmcnt(0)
	v_mul_f32_e32 v30, v1, v5
	v_fma_f32 v30, v0, v4, -v30
	v_mul_f32_e32 v0, v0, v5
	v_fmac_f32_e32 v0, v1, v4
	ds_read_b128 v[24:27], v14 offset:240
	v_add_f32_e32 v1, v28, v30
	v_add_f32_e32 v0, v29, v0
	ds_read2_b64 v[28:31], v22 offset0:192 offset1:224
	v_mul_f32_e32 v4, v3, v7
	v_fma_f32 v4, v2, v6, -v4
	v_mul_f32_e32 v2, v2, v7
	v_fmac_f32_e32 v2, v3, v6
	v_add_f32_e32 v0, v0, v2
	s_waitcnt lgkmcnt(0)
	v_mul_f32_e32 v2, v29, v25
	v_mul_f32_e32 v3, v28, v25
	v_add_f32_e32 v1, v1, v4
	v_fma_f32 v2, v28, v24, -v2
	v_fmac_f32_e32 v3, v29, v24
	v_add_f32_e32 v1, v1, v2
	v_add_f32_e32 v2, v0, v3
	v_mul_f32_e32 v3, v30, v27
	v_mul_f32_e32 v0, v31, v27
	v_fmac_f32_e32 v3, v31, v26
	v_fma_f32 v0, v30, v26, -v0
	v_add_f32_e32 v2, v2, v3
	v_add_f32_e32 v0, v1, v0
	v_pk_mul_f32 v[2:3], s[10:11], v[2:3] op_sel_hi:[1,0]
	v_pk_fma_f32 v[4:5], s[10:11], v[0:1], v[2:3] op_sel:[0,0,1] op_sel_hi:[1,1,0] neg_lo:[0,0,1] neg_hi:[0,0,1]
	v_pk_fma_f32 v[0:1], s[10:11], v[0:1], v[2:3] op_sel:[0,0,1] op_sel_hi:[1,0,0]
	v_mov_b32_e32 v5, v1
	s_waitcnt vmcnt(0)
	v_pk_add_f32 v[0:1], v[32:33], v[4:5]
	global_store_dwordx2 v[8:9], v[0:1], off
	s_branch .LBB46_6
.LBB46_13:
	s_endpgm
	.section	.rodata,"a",@progbits
	.p2align	6, 0x0
	.amdhsa_kernel _ZL24rocblas_symm_hemm_kernelILb0ELb1ELi32EPK19rocblas_complex_numIfEPKS3_PKPS1_EvbiiT2_T3_lllSA_lllT4_llli
		.amdhsa_group_segment_fixed_size 16384
		.amdhsa_private_segment_fixed_size 0
		.amdhsa_kernarg_size 384
		.amdhsa_user_sgpr_count 6
		.amdhsa_user_sgpr_private_segment_buffer 1
		.amdhsa_user_sgpr_dispatch_ptr 0
		.amdhsa_user_sgpr_queue_ptr 0
		.amdhsa_user_sgpr_kernarg_segment_ptr 1
		.amdhsa_user_sgpr_dispatch_id 0
		.amdhsa_user_sgpr_flat_scratch_init 0
		.amdhsa_user_sgpr_kernarg_preload_length 0
		.amdhsa_user_sgpr_kernarg_preload_offset 0
		.amdhsa_user_sgpr_private_segment_size 0
		.amdhsa_uses_dynamic_stack 0
		.amdhsa_system_sgpr_private_segment_wavefront_offset 0
		.amdhsa_system_sgpr_workgroup_id_x 1
		.amdhsa_system_sgpr_workgroup_id_y 1
		.amdhsa_system_sgpr_workgroup_id_z 1
		.amdhsa_system_sgpr_workgroup_info 0
		.amdhsa_system_vgpr_workitem_id 1
		.amdhsa_next_free_vgpr 40
		.amdhsa_next_free_sgpr 32
		.amdhsa_accum_offset 40
		.amdhsa_reserve_vcc 1
		.amdhsa_reserve_flat_scratch 0
		.amdhsa_float_round_mode_32 0
		.amdhsa_float_round_mode_16_64 0
		.amdhsa_float_denorm_mode_32 3
		.amdhsa_float_denorm_mode_16_64 3
		.amdhsa_dx10_clamp 1
		.amdhsa_ieee_mode 1
		.amdhsa_fp16_overflow 0
		.amdhsa_tg_split 0
		.amdhsa_exception_fp_ieee_invalid_op 0
		.amdhsa_exception_fp_denorm_src 0
		.amdhsa_exception_fp_ieee_div_zero 0
		.amdhsa_exception_fp_ieee_overflow 0
		.amdhsa_exception_fp_ieee_underflow 0
		.amdhsa_exception_fp_ieee_inexact 0
		.amdhsa_exception_int_div_zero 0
	.end_amdhsa_kernel
	.section	.text._ZL24rocblas_symm_hemm_kernelILb0ELb1ELi32EPK19rocblas_complex_numIfEPKS3_PKPS1_EvbiiT2_T3_lllSA_lllT4_llli,"axG",@progbits,_ZL24rocblas_symm_hemm_kernelILb0ELb1ELi32EPK19rocblas_complex_numIfEPKS3_PKPS1_EvbiiT2_T3_lllSA_lllT4_llli,comdat
.Lfunc_end46:
	.size	_ZL24rocblas_symm_hemm_kernelILb0ELb1ELi32EPK19rocblas_complex_numIfEPKS3_PKPS1_EvbiiT2_T3_lllSA_lllT4_llli, .Lfunc_end46-_ZL24rocblas_symm_hemm_kernelILb0ELb1ELi32EPK19rocblas_complex_numIfEPKS3_PKPS1_EvbiiT2_T3_lllSA_lllT4_llli
                                        ; -- End function
	.section	.AMDGPU.csdata,"",@progbits
; Kernel info:
; codeLenInByte = 2060
; NumSgprs: 36
; NumVgprs: 40
; NumAgprs: 0
; TotalNumVgprs: 40
; ScratchSize: 0
; MemoryBound: 0
; FloatMode: 240
; IeeeMode: 1
; LDSByteSize: 16384 bytes/workgroup (compile time only)
; SGPRBlocks: 4
; VGPRBlocks: 4
; NumSGPRsForWavesPerEU: 36
; NumVGPRsForWavesPerEU: 40
; AccumOffset: 40
; Occupancy: 8
; WaveLimiterHint : 1
; COMPUTE_PGM_RSRC2:SCRATCH_EN: 0
; COMPUTE_PGM_RSRC2:USER_SGPR: 6
; COMPUTE_PGM_RSRC2:TRAP_HANDLER: 0
; COMPUTE_PGM_RSRC2:TGID_X_EN: 1
; COMPUTE_PGM_RSRC2:TGID_Y_EN: 1
; COMPUTE_PGM_RSRC2:TGID_Z_EN: 1
; COMPUTE_PGM_RSRC2:TIDIG_COMP_CNT: 1
; COMPUTE_PGM_RSRC3_GFX90A:ACCUM_OFFSET: 9
; COMPUTE_PGM_RSRC3_GFX90A:TG_SPLIT: 0
	.section	.text._ZL25rocblas_symm_scale_kernelILi128ELi8E19rocblas_complex_numIfEPKPS1_EviiT1_T2_llli,"axG",@progbits,_ZL25rocblas_symm_scale_kernelILi128ELi8E19rocblas_complex_numIfEPKPS1_EviiT1_T2_llli,comdat
	.globl	_ZL25rocblas_symm_scale_kernelILi128ELi8E19rocblas_complex_numIfEPKPS1_EviiT1_T2_llli ; -- Begin function _ZL25rocblas_symm_scale_kernelILi128ELi8E19rocblas_complex_numIfEPKPS1_EviiT1_T2_llli
	.p2align	8
	.type	_ZL25rocblas_symm_scale_kernelILi128ELi8E19rocblas_complex_numIfEPKPS1_EviiT1_T2_llli,@function
_ZL25rocblas_symm_scale_kernelILi128ELi8E19rocblas_complex_numIfEPKPS1_EviiT1_T2_llli: ; @_ZL25rocblas_symm_scale_kernelILi128ELi8E19rocblas_complex_numIfEPKPS1_EviiT1_T2_llli
; %bb.0:
	s_load_dwordx4 s[0:3], s[4:5], 0x0
	s_waitcnt lgkmcnt(0)
	v_cmp_eq_f32_e64 s[10:11], s2, 1.0
	v_cmp_eq_f32_e64 s[12:13], s3, 0
	s_and_b64 s[10:11], s[10:11], s[12:13]
	s_and_b64 vcc, exec, s[10:11]
	s_cbranch_vccnz .LBB47_6
; %bb.1:
	v_and_b32_e32 v1, 0x3ff, v0
	v_bfe_u32 v0, v0, 10, 10
	v_lshl_add_u32 v2, s6, 7, v1
	v_lshl_add_u32 v0, s7, 3, v0
	v_mov_b32_e32 v1, 0
	s_ashr_i32 s7, s1, 31
	s_mov_b32 s6, s1
	v_cmp_gt_u32_e32 vcc, s0, v2
	v_cmp_gt_i64_e64 s[0:1], s[6:7], v[0:1]
	s_and_b64 s[0:1], vcc, s[0:1]
	s_and_saveexec_b64 s[10:11], s[0:1]
	s_cbranch_execz .LBB47_6
; %bb.2:
	s_load_dwordx4 s[12:15], s[4:5], 0x10
	s_load_dwordx2 s[0:1], s[4:5], 0x20
	s_mov_b32 s9, 0
	s_lshl_b64 s[16:17], s[8:9], 3
	s_load_dword s4, s[4:5], 0x3c
	s_waitcnt lgkmcnt(0)
	s_add_u32 s12, s12, s16
	s_mov_b32 s10, s3
	s_addc_u32 s13, s13, s17
	s_or_b32 s3, s2, s3
	s_bitset0_b32 s3, 31
	s_cmp_lg_u32 s3, 0
	s_cselect_b64 s[16:17], -1, 0
	s_lshl_b32 s3, s4, 3
	v_mad_u64_u32 v[4:5], s[4:5], s0, v0, 0
	v_mov_b32_e32 v6, v5
	v_mad_u64_u32 v[6:7], s[4:5], s1, v0, v[6:7]
	v_mov_b32_e32 v5, v6
	s_load_dwordx2 s[12:13], s[12:13], 0x0
	v_lshlrev_b64 v[4:5], 3, v[4:5]
	s_lshl_b64 s[4:5], s[14:15], 3
	v_mov_b32_e32 v3, v1
	v_mov_b32_e32 v6, s5
	v_add_co_u32_e32 v4, vcc, s4, v4
	v_addc_co_u32_e32 v5, vcc, v5, v6, vcc
	v_lshlrev_b64 v[2:3], 3, v[2:3]
	v_add_co_u32_e32 v2, vcc, v4, v2
	v_addc_co_u32_e32 v3, vcc, v5, v3, vcc
	s_waitcnt lgkmcnt(0)
	v_mov_b32_e32 v4, s13
	v_add_co_u32_e32 v2, vcc, s12, v2
	s_mul_i32 s1, s1, s3
	s_mul_hi_u32 s4, s0, s3
	v_addc_co_u32_e32 v3, vcc, v3, v4, vcc
	s_add_i32 s1, s4, s1
	s_mul_i32 s0, s0, s3
	v_add_co_u32_e32 v2, vcc, 4, v2
	s_lshl_b64 s[4:5], s[0:1], 3
	v_cndmask_b32_e64 v4, 0, 1, s[16:17]
	s_mov_b32 s11, s2
	v_addc_co_u32_e32 v3, vcc, 0, v3, vcc
	s_mov_b64 s[12:13], 0
	v_cmp_ne_u32_e64 s[0:1], 1, v4
	v_mov_b32_e32 v6, s9
	v_mov_b32_e32 v7, s5
	s_branch .LBB47_4
.LBB47_3:                               ;   in Loop: Header=BB47_4 Depth=1
	v_add_co_u32_e32 v0, vcc, s3, v0
	v_addc_co_u32_e32 v1, vcc, v1, v6, vcc
	v_cmp_le_i64_e32 vcc, s[6:7], v[0:1]
	global_store_dwordx2 v[2:3], v[4:5], off offset:-4
	s_or_b64 s[12:13], vcc, s[12:13]
	v_add_co_u32_e32 v2, vcc, s4, v2
	v_addc_co_u32_e32 v3, vcc, v3, v7, vcc
	s_andn2_b64 exec, exec, s[12:13]
	s_cbranch_execz .LBB47_6
.LBB47_4:                               ; =>This Inner Loop Header: Depth=1
	s_and_b64 vcc, exec, s[0:1]
	v_mov_b32_e32 v5, 0
	v_mov_b32_e32 v4, 0
	s_cbranch_vccnz .LBB47_3
; %bb.5:                                ;   in Loop: Header=BB47_4 Depth=1
	global_load_dwordx2 v[4:5], v[2:3], off offset:-4
	s_waitcnt vmcnt(0)
	v_mul_f32_e32 v10, s2, v4
	v_pk_mul_f32 v[8:9], v[4:5], s[10:11]
	v_fma_f32 v4, -v5, s10, v10
	v_add_f32_e32 v5, v8, v9
	s_branch .LBB47_3
.LBB47_6:
	s_endpgm
	.section	.rodata,"a",@progbits
	.p2align	6, 0x0
	.amdhsa_kernel _ZL25rocblas_symm_scale_kernelILi128ELi8E19rocblas_complex_numIfEPKPS1_EviiT1_T2_llli
		.amdhsa_group_segment_fixed_size 0
		.amdhsa_private_segment_fixed_size 0
		.amdhsa_kernarg_size 312
		.amdhsa_user_sgpr_count 6
		.amdhsa_user_sgpr_private_segment_buffer 1
		.amdhsa_user_sgpr_dispatch_ptr 0
		.amdhsa_user_sgpr_queue_ptr 0
		.amdhsa_user_sgpr_kernarg_segment_ptr 1
		.amdhsa_user_sgpr_dispatch_id 0
		.amdhsa_user_sgpr_flat_scratch_init 0
		.amdhsa_user_sgpr_kernarg_preload_length 0
		.amdhsa_user_sgpr_kernarg_preload_offset 0
		.amdhsa_user_sgpr_private_segment_size 0
		.amdhsa_uses_dynamic_stack 0
		.amdhsa_system_sgpr_private_segment_wavefront_offset 0
		.amdhsa_system_sgpr_workgroup_id_x 1
		.amdhsa_system_sgpr_workgroup_id_y 1
		.amdhsa_system_sgpr_workgroup_id_z 1
		.amdhsa_system_sgpr_workgroup_info 0
		.amdhsa_system_vgpr_workitem_id 1
		.amdhsa_next_free_vgpr 11
		.amdhsa_next_free_sgpr 18
		.amdhsa_accum_offset 12
		.amdhsa_reserve_vcc 1
		.amdhsa_reserve_flat_scratch 0
		.amdhsa_float_round_mode_32 0
		.amdhsa_float_round_mode_16_64 0
		.amdhsa_float_denorm_mode_32 3
		.amdhsa_float_denorm_mode_16_64 3
		.amdhsa_dx10_clamp 1
		.amdhsa_ieee_mode 1
		.amdhsa_fp16_overflow 0
		.amdhsa_tg_split 0
		.amdhsa_exception_fp_ieee_invalid_op 0
		.amdhsa_exception_fp_denorm_src 0
		.amdhsa_exception_fp_ieee_div_zero 0
		.amdhsa_exception_fp_ieee_overflow 0
		.amdhsa_exception_fp_ieee_underflow 0
		.amdhsa_exception_fp_ieee_inexact 0
		.amdhsa_exception_int_div_zero 0
	.end_amdhsa_kernel
	.section	.text._ZL25rocblas_symm_scale_kernelILi128ELi8E19rocblas_complex_numIfEPKPS1_EviiT1_T2_llli,"axG",@progbits,_ZL25rocblas_symm_scale_kernelILi128ELi8E19rocblas_complex_numIfEPKPS1_EviiT1_T2_llli,comdat
.Lfunc_end47:
	.size	_ZL25rocblas_symm_scale_kernelILi128ELi8E19rocblas_complex_numIfEPKPS1_EviiT1_T2_llli, .Lfunc_end47-_ZL25rocblas_symm_scale_kernelILi128ELi8E19rocblas_complex_numIfEPKPS1_EviiT1_T2_llli
                                        ; -- End function
	.section	.AMDGPU.csdata,"",@progbits
; Kernel info:
; codeLenInByte = 432
; NumSgprs: 22
; NumVgprs: 11
; NumAgprs: 0
; TotalNumVgprs: 11
; ScratchSize: 0
; MemoryBound: 0
; FloatMode: 240
; IeeeMode: 1
; LDSByteSize: 0 bytes/workgroup (compile time only)
; SGPRBlocks: 2
; VGPRBlocks: 1
; NumSGPRsForWavesPerEU: 22
; NumVGPRsForWavesPerEU: 11
; AccumOffset: 12
; Occupancy: 8
; WaveLimiterHint : 0
; COMPUTE_PGM_RSRC2:SCRATCH_EN: 0
; COMPUTE_PGM_RSRC2:USER_SGPR: 6
; COMPUTE_PGM_RSRC2:TRAP_HANDLER: 0
; COMPUTE_PGM_RSRC2:TGID_X_EN: 1
; COMPUTE_PGM_RSRC2:TGID_Y_EN: 1
; COMPUTE_PGM_RSRC2:TGID_Z_EN: 1
; COMPUTE_PGM_RSRC2:TIDIG_COMP_CNT: 1
; COMPUTE_PGM_RSRC3_GFX90A:ACCUM_OFFSET: 2
; COMPUTE_PGM_RSRC3_GFX90A:TG_SPLIT: 0
	.section	.text._ZL24rocblas_symm_hemm_kernelILb0ELb0ELi32E19rocblas_complex_numIfEPKPKS1_PKPS1_EvbiiT2_T3_lllSA_lllT4_llli,"axG",@progbits,_ZL24rocblas_symm_hemm_kernelILb0ELb0ELi32E19rocblas_complex_numIfEPKPKS1_PKPS1_EvbiiT2_T3_lllSA_lllT4_llli,comdat
	.globl	_ZL24rocblas_symm_hemm_kernelILb0ELb0ELi32E19rocblas_complex_numIfEPKPKS1_PKPS1_EvbiiT2_T3_lllSA_lllT4_llli ; -- Begin function _ZL24rocblas_symm_hemm_kernelILb0ELb0ELi32E19rocblas_complex_numIfEPKPKS1_PKPS1_EvbiiT2_T3_lllSA_lllT4_llli
	.p2align	8
	.type	_ZL24rocblas_symm_hemm_kernelILb0ELb0ELi32E19rocblas_complex_numIfEPKPKS1_PKPS1_EvbiiT2_T3_lllSA_lllT4_llli,@function
_ZL24rocblas_symm_hemm_kernelILb0ELb0ELi32E19rocblas_complex_numIfEPKPKS1_PKPS1_EvbiiT2_T3_lllSA_lllT4_llli: ; @_ZL24rocblas_symm_hemm_kernelILb0ELb0ELi32E19rocblas_complex_numIfEPKPKS1_PKPS1_EvbiiT2_T3_lllSA_lllT4_llli
; %bb.0:
	s_load_dwordx4 s[12:15], s[4:5], 0x0
	s_load_dword s11, s[4:5], 0x10
	s_waitcnt lgkmcnt(0)
	v_cmp_eq_f32_e64 s[0:1], s15, 0
	v_cmp_eq_f32_e64 s[2:3], s11, 0
	s_and_b64 s[0:1], s[0:1], s[2:3]
	s_and_b64 vcc, exec, s[0:1]
	s_cbranch_vccnz .LBB48_13
; %bb.1:
	s_add_i32 s0, s14, -1
	s_ashr_i32 s1, s0, 31
	s_lshr_b32 s1, s1, 27
	s_add_i32 s0, s0, s1
	s_ashr_i32 s26, s0, 5
	s_cmp_gt_i32 s7, s26
	s_cbranch_scc1 .LBB48_13
; %bb.2:
	s_load_dwordx4 s[0:3], s[4:5], 0x18
	s_load_dwordx2 s[16:17], s[4:5], 0x28
	s_mov_b32 s9, 0
	s_lshl_b64 s[8:9], s[8:9], 3
	s_mov_b32 s10, s15
	s_waitcnt lgkmcnt(0)
	s_add_u32 s0, s0, s8
	s_addc_u32 s1, s1, s9
	s_load_dwordx2 s[0:1], s[0:1], 0x0
	s_nop 0
	s_load_dwordx4 s[20:23], s[4:5], 0x38
	s_load_dwordx2 s[18:19], s[4:5], 0x48
	s_lshl_b64 s[2:3], s[2:3], 3
	v_and_b32_e32 v12, 0x3ff, v0
	v_bfe_u32 v13, v0, 10, 10
	s_waitcnt lgkmcnt(0)
	s_add_u32 s15, s0, s2
	s_addc_u32 s27, s1, s3
	s_add_u32 s24, s20, s8
	s_addc_u32 s25, s21, s9
	s_load_dwordx2 s[28:29], s[24:25], 0x0
	s_load_dwordx2 s[20:21], s[4:5], 0x68
	s_load_dwordx4 s[0:3], s[4:5], 0x58
	s_lshl_b64 s[22:23], s[22:23], 3
	v_lshl_add_u32 v8, s6, 5, v12
	s_waitcnt lgkmcnt(0)
	s_add_u32 s28, s28, s22
	s_addc_u32 s29, s29, s23
	s_add_u32 s0, s0, s8
	s_addc_u32 s1, s1, s9
	s_load_dwordx2 s[8:9], s[0:1], 0x0
	s_bitcmp1_b32 s12, 0
	s_cselect_b64 s[0:1], -1, 0
	s_lshl_b64 s[2:3], s[2:3], 3
	v_lshlrev_b32_e32 v0, 3, v13
	v_lshlrev_b32_e32 v14, 8, v12
	v_ashrrev_i32_e32 v9, 31, v8
	s_waitcnt lgkmcnt(0)
	s_add_u32 s6, s8, s2
	v_add_u32_e32 v15, v14, v0
	v_or_b32_e32 v16, 0x2000, v0
	v_lshlrev_b64 v[0:1], 3, v[8:9]
	s_addc_u32 s8, s9, s3
	v_add_co_u32_e32 v9, vcc, s6, v0
	s_load_dword s6, s[4:5], 0x84
	s_cmp_gt_i32 s13, 0
	s_cselect_b64 s[4:5], -1, 0
	v_mov_b32_e32 v2, s8
	v_cndmask_b32_e64 v0, 0, 1, s[4:5]
	v_add_u32_e32 v17, v16, v14
	v_cmp_gt_i32_e64 s[2:3], s13, v8
	v_addc_co_u32_e32 v18, vcc, v2, v1, vcc
	v_cmp_ne_u32_e64 s[4:5], 1, v0
	v_add_u32_e32 v19, 0x800, v16
	v_add_u32_e32 v20, 0x1000, v16
	;; [unrolled: 1-line block ×3, first 2 shown]
	s_branch .LBB48_4
.LBB48_3:                               ;   in Loop: Header=BB48_4 Depth=1
	s_waitcnt lgkmcnt(0)
	s_add_i32 s7, s7, s6
	s_cmp_gt_i32 s7, s26
	s_cbranch_scc1 .LBB48_13
.LBB48_4:                               ; =>This Loop Header: Depth=1
                                        ;     Child Loop BB48_7 Depth 2
	s_and_b64 vcc, exec, s[4:5]
	s_cbranch_vccnz .LBB48_3
; %bb.5:                                ;   in Loop: Header=BB48_4 Depth=1
	v_lshl_add_u32 v2, s7, 5, v13
	v_ashrrev_i32_e32 v3, 31, v2
	v_mul_lo_u32 v4, v3, s18
	v_mul_lo_u32 v5, v2, s19
	v_mad_u64_u32 v[0:1], s[8:9], v2, s18, 0
	v_add3_u32 v1, v1, v5, v4
	v_lshlrev_b64 v[0:1], 3, v[0:1]
	v_mov_b32_e32 v4, s29
	v_add_co_u32_e64 v22, s[8:9], s28, v0
	v_addc_co_u32_e64 v23, s[8:9], v4, v1, s[8:9]
	v_mul_lo_u32 v3, v3, s20
	v_mul_lo_u32 v4, v2, s21
	v_mad_u64_u32 v[0:1], s[8:9], v2, s20, 0
	v_add3_u32 v1, v1, v4, v3
	v_lshlrev_b64 v[0:1], 3, v[0:1]
	v_cmp_gt_i32_e32 vcc, s14, v2
	v_add_co_u32_e64 v10, s[8:9], v9, v0
	s_and_b64 s[22:23], s[2:3], vcc
	v_addc_co_u32_e64 v11, s[8:9], v18, v1, s[8:9]
	s_mov_b32 s12, 0
	s_branch .LBB48_7
.LBB48_6:                               ;   in Loop: Header=BB48_7 Depth=2
	s_or_b64 exec, exec, s[8:9]
	s_add_i32 s12, s12, 32
	s_cmp_ge_i32 s12, s13
	s_barrier
	s_cbranch_scc1 .LBB48_3
.LBB48_7:                               ;   Parent Loop BB48_4 Depth=1
                                        ; =>  This Inner Loop Header: Depth=2
	v_add_u32_e32 v0, s12, v13
	v_cndmask_b32_e64 v1, v0, v8, s[0:1]
	v_cndmask_b32_e64 v2, v8, v0, s[0:1]
	v_cmp_gt_i32_e64 s[8:9], v1, v2
	v_cndmask_b32_e64 v2, v8, v0, s[8:9]
	v_cndmask_b32_e64 v1, v0, v8, s[8:9]
	v_max_i32_e32 v0, v2, v1
	v_cmp_gt_i32_e64 s[8:9], s13, v0
	v_mov_b32_e32 v0, 0
	v_mov_b32_e32 v4, 0
	v_mov_b32_e32 v5, 0
	s_and_saveexec_b64 s[24:25], s[8:9]
	s_cbranch_execz .LBB48_9
; %bb.8:                                ;   in Loop: Header=BB48_7 Depth=2
	v_ashrrev_i32_e32 v3, 31, v1
	v_mul_lo_u32 v6, v1, s17
	v_mul_lo_u32 v3, v3, s16
	v_mad_u64_u32 v[4:5], s[8:9], v1, s16, 0
	v_add3_u32 v5, v5, v6, v3
	v_lshlrev_b64 v[4:5], 3, v[4:5]
	v_ashrrev_i32_e32 v3, 31, v2
	v_mov_b32_e32 v1, s27
	v_add_co_u32_e64 v4, s[8:9], s15, v4
	v_addc_co_u32_e64 v1, s[8:9], v1, v5, s[8:9]
	v_lshlrev_b64 v[2:3], 3, v[2:3]
	v_add_co_u32_e64 v2, s[8:9], v4, v2
	v_addc_co_u32_e64 v3, s[8:9], v1, v3, s[8:9]
	global_load_dwordx2 v[4:5], v[2:3], off
.LBB48_9:                               ;   in Loop: Header=BB48_7 Depth=2
	s_or_b64 exec, exec, s[24:25]
	v_add_u32_e32 v2, s12, v12
	v_cmp_gt_i32_e64 s[8:9], s13, v2
	s_and_b64 s[8:9], s[8:9], vcc
	v_mov_b32_e32 v1, 0
	s_waitcnt vmcnt(0)
	ds_write_b64 v15, v[4:5]
	s_and_saveexec_b64 s[24:25], s[8:9]
	s_cbranch_execz .LBB48_11
; %bb.10:                               ;   in Loop: Header=BB48_7 Depth=2
	v_ashrrev_i32_e32 v3, 31, v2
	v_lshlrev_b64 v[0:1], 3, v[2:3]
	v_add_co_u32_e64 v0, s[8:9], v22, v0
	v_addc_co_u32_e64 v1, s[8:9], v23, v1, s[8:9]
	global_load_dwordx2 v[0:1], v[0:1], off
.LBB48_11:                              ;   in Loop: Header=BB48_7 Depth=2
	s_or_b64 exec, exec, s[24:25]
	s_waitcnt vmcnt(0)
	ds_write_b64 v17, v[0:1]
	s_waitcnt lgkmcnt(0)
	s_barrier
	s_and_saveexec_b64 s[8:9], s[22:23]
	s_cbranch_execz .LBB48_6
; %bb.12:                               ;   in Loop: Header=BB48_7 Depth=2
	ds_read2_b64 v[0:3], v16 offset1:32
	ds_read_b128 v[4:7], v14
	ds_read_b128 v[24:27], v14 offset:16
	ds_read_b128 v[28:31], v14 offset:32
	;; [unrolled: 1-line block ×3, first 2 shown]
	s_waitcnt lgkmcnt(3)
	v_mul_f32_e32 v36, v1, v5
	v_fma_f32 v36, v0, v4, -v36
	v_mul_f32_e32 v0, v0, v5
	v_fmac_f32_e32 v0, v1, v4
	v_add_f32_e32 v1, 0, v36
	ds_read2_b64 v[36:39], v16 offset0:64 offset1:96
	v_mul_f32_e32 v4, v3, v7
	v_fma_f32 v4, v2, v6, -v4
	v_mul_f32_e32 v2, v2, v7
	v_add_f32_e32 v0, 0, v0
	v_fmac_f32_e32 v2, v3, v6
	s_waitcnt lgkmcnt(0)
	v_mul_f32_e32 v3, v36, v25
	v_add_f32_e32 v0, v0, v2
	v_mul_f32_e32 v2, v37, v25
	v_fmac_f32_e32 v3, v37, v24
	v_add_f32_e32 v1, v1, v4
	v_fma_f32 v2, v36, v24, -v2
	v_add_f32_e32 v5, v0, v3
	v_mul_f32_e32 v0, v39, v27
	v_add_f32_e32 v4, v1, v2
	v_fma_f32 v6, v38, v26, -v0
	ds_read2_b64 v[0:3], v16 offset0:128 offset1:160
	v_mul_f32_e32 v7, v38, v27
	v_add_f32_e32 v4, v4, v6
	v_fmac_f32_e32 v7, v39, v26
	v_add_f32_e32 v5, v5, v7
	s_waitcnt lgkmcnt(0)
	v_mul_f32_e32 v6, v1, v29
	v_fma_f32 v6, v0, v28, -v6
	v_mul_f32_e32 v0, v0, v29
	v_fmac_f32_e32 v0, v1, v28
	v_add_f32_e32 v1, v4, v6
	v_mul_f32_e32 v4, v3, v31
	v_add_f32_e32 v0, v5, v0
	v_fma_f32 v24, v2, v30, -v4
	ds_read2_b64 v[4:7], v16 offset0:192 offset1:224
	v_mul_f32_e32 v2, v2, v31
	v_fmac_f32_e32 v2, v3, v30
	v_add_f32_e32 v0, v0, v2
	v_add_f32_e32 v1, v1, v24
	s_waitcnt lgkmcnt(0)
	v_mul_f32_e32 v3, v4, v33
	v_mul_f32_e32 v2, v5, v33
	v_fmac_f32_e32 v3, v5, v32
	v_fma_f32 v2, v4, v32, -v2
	v_add_f32_e32 v5, v0, v3
	v_mul_f32_e32 v0, v7, v35
	v_add_f32_e32 v4, v1, v2
	v_fma_f32 v28, v6, v34, -v0
	ds_read2_b64 v[0:3], v19 offset1:32
	ds_read_b128 v[24:27], v14 offset:64
	v_mul_f32_e32 v6, v6, v35
	v_fmac_f32_e32 v6, v7, v34
	v_add_f32_e32 v28, v4, v28
	v_add_f32_e32 v29, v5, v6
	s_waitcnt lgkmcnt(0)
	v_mul_f32_e32 v30, v1, v25
	v_fma_f32 v30, v0, v24, -v30
	v_mul_f32_e32 v0, v0, v25
	v_fmac_f32_e32 v0, v1, v24
	ds_read_b128 v[4:7], v14 offset:80
	v_add_f32_e32 v1, v28, v30
	v_add_f32_e32 v0, v29, v0
	ds_read2_b64 v[28:31], v19 offset0:64 offset1:96
	v_mul_f32_e32 v24, v3, v27
	v_fma_f32 v24, v2, v26, -v24
	v_mul_f32_e32 v2, v2, v27
	v_fmac_f32_e32 v2, v3, v26
	s_waitcnt lgkmcnt(0)
	v_mul_f32_e32 v3, v28, v5
	v_add_f32_e32 v0, v0, v2
	v_mul_f32_e32 v2, v29, v5
	v_fmac_f32_e32 v3, v29, v4
	v_add_f32_e32 v1, v1, v24
	v_fma_f32 v2, v28, v4, -v2
	v_add_f32_e32 v5, v0, v3
	v_mul_f32_e32 v0, v31, v7
	v_add_f32_e32 v4, v1, v2
	v_fma_f32 v28, v30, v6, -v0
	ds_read2_b64 v[0:3], v19 offset0:128 offset1:160
	ds_read_b128 v[24:27], v14 offset:96
	v_mul_f32_e32 v7, v30, v7
	v_fmac_f32_e32 v7, v31, v6
	v_add_f32_e32 v28, v4, v28
	v_add_f32_e32 v29, v5, v7
	s_waitcnt lgkmcnt(0)
	v_mul_f32_e32 v30, v1, v25
	v_fma_f32 v30, v0, v24, -v30
	v_mul_f32_e32 v0, v0, v25
	v_fmac_f32_e32 v0, v1, v24
	ds_read_b128 v[4:7], v14 offset:112
	v_add_f32_e32 v1, v28, v30
	v_add_f32_e32 v0, v29, v0
	ds_read2_b64 v[28:31], v19 offset0:192 offset1:224
	v_mul_f32_e32 v24, v3, v27
	v_fma_f32 v24, v2, v26, -v24
	v_mul_f32_e32 v2, v2, v27
	v_fmac_f32_e32 v2, v3, v26
	s_waitcnt lgkmcnt(0)
	v_mul_f32_e32 v3, v28, v5
	v_add_f32_e32 v0, v0, v2
	v_mul_f32_e32 v2, v29, v5
	v_fmac_f32_e32 v3, v29, v4
	v_add_f32_e32 v1, v1, v24
	v_fma_f32 v2, v28, v4, -v2
	v_add_f32_e32 v5, v0, v3
	v_mul_f32_e32 v0, v31, v7
	v_add_f32_e32 v4, v1, v2
	v_fma_f32 v28, v30, v6, -v0
	ds_read2_b64 v[0:3], v20 offset1:32
	ds_read_b128 v[24:27], v14 offset:128
	v_mul_f32_e32 v7, v30, v7
	v_fmac_f32_e32 v7, v31, v6
	v_add_f32_e32 v4, v4, v28
	ds_read_b128 v[28:31], v14 offset:144
	ds_read2_b64 v[32:35], v20 offset0:64 offset1:96
	s_waitcnt lgkmcnt(2)
	v_mul_f32_e32 v6, v1, v25
	v_fma_f32 v6, v0, v24, -v6
	v_mul_f32_e32 v0, v0, v25
	v_fmac_f32_e32 v0, v1, v24
	v_add_f32_e32 v1, v4, v6
	v_mul_f32_e32 v4, v3, v27
	v_add_f32_e32 v5, v5, v7
	v_fma_f32 v4, v2, v26, -v4
	v_mul_f32_e32 v2, v2, v27
	v_add_f32_e32 v0, v5, v0
	v_fmac_f32_e32 v2, v3, v26
	s_waitcnt lgkmcnt(0)
	v_mul_f32_e32 v3, v32, v29
	v_add_f32_e32 v0, v0, v2
	v_mul_f32_e32 v2, v33, v29
	v_fmac_f32_e32 v3, v33, v28
	v_add_f32_e32 v1, v1, v4
	v_fma_f32 v2, v32, v28, -v2
	v_add_f32_e32 v25, v0, v3
	v_mul_f32_e32 v0, v35, v31
	v_add_f32_e32 v24, v1, v2
	v_fma_f32 v26, v34, v30, -v0
	ds_read2_b64 v[0:3], v20 offset0:128 offset1:160
	ds_read_b128 v[4:7], v14 offset:160
	global_load_dwordx2 v[32:33], v[10:11], off
	v_mul_f32_e32 v27, v34, v31
	v_fmac_f32_e32 v27, v35, v30
	v_add_f32_e32 v28, v24, v26
	s_waitcnt lgkmcnt(0)
	v_mul_f32_e32 v30, v1, v5
	v_fma_f32 v30, v0, v4, -v30
	v_mul_f32_e32 v0, v0, v5
	v_add_f32_e32 v29, v25, v27
	v_fmac_f32_e32 v0, v1, v4
	ds_read_b128 v[24:27], v14 offset:176
	v_add_f32_e32 v1, v28, v30
	v_add_f32_e32 v0, v29, v0
	ds_read2_b64 v[28:31], v20 offset0:192 offset1:224
	v_mul_f32_e32 v4, v3, v7
	v_fma_f32 v4, v2, v6, -v4
	v_mul_f32_e32 v2, v2, v7
	v_fmac_f32_e32 v2, v3, v6
	s_waitcnt lgkmcnt(0)
	v_mul_f32_e32 v3, v28, v25
	v_add_f32_e32 v0, v0, v2
	v_mul_f32_e32 v2, v29, v25
	v_fmac_f32_e32 v3, v29, v24
	v_add_f32_e32 v1, v1, v4
	v_fma_f32 v2, v28, v24, -v2
	v_add_f32_e32 v25, v0, v3
	v_mul_f32_e32 v0, v31, v27
	v_add_f32_e32 v24, v1, v2
	v_fma_f32 v28, v30, v26, -v0
	ds_read2_b64 v[0:3], v21 offset1:32
	ds_read_b128 v[4:7], v14 offset:192
	v_mul_f32_e32 v27, v30, v27
	v_fmac_f32_e32 v27, v31, v26
	v_add_f32_e32 v28, v24, v28
	v_add_f32_e32 v29, v25, v27
	s_waitcnt lgkmcnt(0)
	v_mul_f32_e32 v30, v1, v5
	v_fma_f32 v30, v0, v4, -v30
	v_mul_f32_e32 v0, v0, v5
	v_fmac_f32_e32 v0, v1, v4
	ds_read_b128 v[24:27], v14 offset:208
	v_add_f32_e32 v1, v28, v30
	v_add_f32_e32 v0, v29, v0
	ds_read2_b64 v[28:31], v21 offset0:64 offset1:96
	v_mul_f32_e32 v4, v3, v7
	v_fma_f32 v4, v2, v6, -v4
	v_mul_f32_e32 v2, v2, v7
	v_fmac_f32_e32 v2, v3, v6
	s_waitcnt lgkmcnt(0)
	v_mul_f32_e32 v3, v28, v25
	v_add_f32_e32 v0, v0, v2
	v_mul_f32_e32 v2, v29, v25
	v_fmac_f32_e32 v3, v29, v24
	v_add_f32_e32 v1, v1, v4
	v_fma_f32 v2, v28, v24, -v2
	v_add_f32_e32 v25, v0, v3
	v_mul_f32_e32 v0, v31, v27
	v_add_f32_e32 v24, v1, v2
	v_fma_f32 v28, v30, v26, -v0
	ds_read2_b64 v[0:3], v21 offset0:128 offset1:160
	ds_read_b128 v[4:7], v14 offset:224
	v_mul_f32_e32 v27, v30, v27
	v_fmac_f32_e32 v27, v31, v26
	v_add_f32_e32 v28, v24, v28
	v_add_f32_e32 v29, v25, v27
	s_waitcnt lgkmcnt(0)
	v_mul_f32_e32 v30, v1, v5
	v_fma_f32 v30, v0, v4, -v30
	v_mul_f32_e32 v0, v0, v5
	v_fmac_f32_e32 v0, v1, v4
	ds_read_b128 v[24:27], v14 offset:240
	v_add_f32_e32 v1, v28, v30
	v_add_f32_e32 v0, v29, v0
	ds_read2_b64 v[28:31], v21 offset0:192 offset1:224
	v_mul_f32_e32 v4, v3, v7
	v_fma_f32 v4, v2, v6, -v4
	v_mul_f32_e32 v2, v2, v7
	v_fmac_f32_e32 v2, v3, v6
	v_add_f32_e32 v0, v0, v2
	s_waitcnt lgkmcnt(0)
	v_mul_f32_e32 v2, v29, v25
	v_mul_f32_e32 v3, v28, v25
	v_add_f32_e32 v1, v1, v4
	v_fma_f32 v2, v28, v24, -v2
	v_fmac_f32_e32 v3, v29, v24
	v_add_f32_e32 v1, v1, v2
	v_add_f32_e32 v2, v0, v3
	v_mul_f32_e32 v3, v30, v27
	v_mul_f32_e32 v0, v31, v27
	v_fmac_f32_e32 v3, v31, v26
	v_fma_f32 v0, v30, v26, -v0
	v_add_f32_e32 v2, v2, v3
	v_add_f32_e32 v0, v1, v0
	v_pk_mul_f32 v[2:3], s[10:11], v[2:3] op_sel_hi:[1,0]
	v_pk_fma_f32 v[4:5], s[10:11], v[0:1], v[2:3] op_sel:[0,0,1] op_sel_hi:[1,1,0] neg_lo:[0,0,1] neg_hi:[0,0,1]
	v_pk_fma_f32 v[0:1], s[10:11], v[0:1], v[2:3] op_sel:[0,0,1] op_sel_hi:[1,0,0]
	v_mov_b32_e32 v5, v1
	s_waitcnt vmcnt(0)
	v_pk_add_f32 v[0:1], v[32:33], v[4:5]
	global_store_dwordx2 v[10:11], v[0:1], off
	s_branch .LBB48_6
.LBB48_13:
	s_endpgm
	.section	.rodata,"a",@progbits
	.p2align	6, 0x0
	.amdhsa_kernel _ZL24rocblas_symm_hemm_kernelILb0ELb0ELi32E19rocblas_complex_numIfEPKPKS1_PKPS1_EvbiiT2_T3_lllSA_lllT4_llli
		.amdhsa_group_segment_fixed_size 16384
		.amdhsa_private_segment_fixed_size 0
		.amdhsa_kernarg_size 384
		.amdhsa_user_sgpr_count 6
		.amdhsa_user_sgpr_private_segment_buffer 1
		.amdhsa_user_sgpr_dispatch_ptr 0
		.amdhsa_user_sgpr_queue_ptr 0
		.amdhsa_user_sgpr_kernarg_segment_ptr 1
		.amdhsa_user_sgpr_dispatch_id 0
		.amdhsa_user_sgpr_flat_scratch_init 0
		.amdhsa_user_sgpr_kernarg_preload_length 0
		.amdhsa_user_sgpr_kernarg_preload_offset 0
		.amdhsa_user_sgpr_private_segment_size 0
		.amdhsa_uses_dynamic_stack 0
		.amdhsa_system_sgpr_private_segment_wavefront_offset 0
		.amdhsa_system_sgpr_workgroup_id_x 1
		.amdhsa_system_sgpr_workgroup_id_y 1
		.amdhsa_system_sgpr_workgroup_id_z 1
		.amdhsa_system_sgpr_workgroup_info 0
		.amdhsa_system_vgpr_workitem_id 1
		.amdhsa_next_free_vgpr 40
		.amdhsa_next_free_sgpr 30
		.amdhsa_accum_offset 40
		.amdhsa_reserve_vcc 1
		.amdhsa_reserve_flat_scratch 0
		.amdhsa_float_round_mode_32 0
		.amdhsa_float_round_mode_16_64 0
		.amdhsa_float_denorm_mode_32 3
		.amdhsa_float_denorm_mode_16_64 3
		.amdhsa_dx10_clamp 1
		.amdhsa_ieee_mode 1
		.amdhsa_fp16_overflow 0
		.amdhsa_tg_split 0
		.amdhsa_exception_fp_ieee_invalid_op 0
		.amdhsa_exception_fp_denorm_src 0
		.amdhsa_exception_fp_ieee_div_zero 0
		.amdhsa_exception_fp_ieee_overflow 0
		.amdhsa_exception_fp_ieee_underflow 0
		.amdhsa_exception_fp_ieee_inexact 0
		.amdhsa_exception_int_div_zero 0
	.end_amdhsa_kernel
	.section	.text._ZL24rocblas_symm_hemm_kernelILb0ELb0ELi32E19rocblas_complex_numIfEPKPKS1_PKPS1_EvbiiT2_T3_lllSA_lllT4_llli,"axG",@progbits,_ZL24rocblas_symm_hemm_kernelILb0ELb0ELi32E19rocblas_complex_numIfEPKPKS1_PKPS1_EvbiiT2_T3_lllSA_lllT4_llli,comdat
.Lfunc_end48:
	.size	_ZL24rocblas_symm_hemm_kernelILb0ELb0ELi32E19rocblas_complex_numIfEPKPKS1_PKPS1_EvbiiT2_T3_lllSA_lllT4_llli, .Lfunc_end48-_ZL24rocblas_symm_hemm_kernelILb0ELb0ELi32E19rocblas_complex_numIfEPKPKS1_PKPS1_EvbiiT2_T3_lllSA_lllT4_llli
                                        ; -- End function
	.section	.AMDGPU.csdata,"",@progbits
; Kernel info:
; codeLenInByte = 2144
; NumSgprs: 34
; NumVgprs: 40
; NumAgprs: 0
; TotalNumVgprs: 40
; ScratchSize: 0
; MemoryBound: 0
; FloatMode: 240
; IeeeMode: 1
; LDSByteSize: 16384 bytes/workgroup (compile time only)
; SGPRBlocks: 4
; VGPRBlocks: 4
; NumSGPRsForWavesPerEU: 34
; NumVGPRsForWavesPerEU: 40
; AccumOffset: 40
; Occupancy: 8
; WaveLimiterHint : 1
; COMPUTE_PGM_RSRC2:SCRATCH_EN: 0
; COMPUTE_PGM_RSRC2:USER_SGPR: 6
; COMPUTE_PGM_RSRC2:TRAP_HANDLER: 0
; COMPUTE_PGM_RSRC2:TGID_X_EN: 1
; COMPUTE_PGM_RSRC2:TGID_Y_EN: 1
; COMPUTE_PGM_RSRC2:TGID_Z_EN: 1
; COMPUTE_PGM_RSRC2:TIDIG_COMP_CNT: 1
; COMPUTE_PGM_RSRC3_GFX90A:ACCUM_OFFSET: 9
; COMPUTE_PGM_RSRC3_GFX90A:TG_SPLIT: 0
	.section	.text._ZL24rocblas_symm_hemm_kernelILb0ELb1ELi32E19rocblas_complex_numIfEPKPKS1_PKPS1_EvbiiT2_T3_lllSA_lllT4_llli,"axG",@progbits,_ZL24rocblas_symm_hemm_kernelILb0ELb1ELi32E19rocblas_complex_numIfEPKPKS1_PKPS1_EvbiiT2_T3_lllSA_lllT4_llli,comdat
	.globl	_ZL24rocblas_symm_hemm_kernelILb0ELb1ELi32E19rocblas_complex_numIfEPKPKS1_PKPS1_EvbiiT2_T3_lllSA_lllT4_llli ; -- Begin function _ZL24rocblas_symm_hemm_kernelILb0ELb1ELi32E19rocblas_complex_numIfEPKPKS1_PKPS1_EvbiiT2_T3_lllSA_lllT4_llli
	.p2align	8
	.type	_ZL24rocblas_symm_hemm_kernelILb0ELb1ELi32E19rocblas_complex_numIfEPKPKS1_PKPS1_EvbiiT2_T3_lllSA_lllT4_llli,@function
_ZL24rocblas_symm_hemm_kernelILb0ELb1ELi32E19rocblas_complex_numIfEPKPKS1_PKPS1_EvbiiT2_T3_lllSA_lllT4_llli: ; @_ZL24rocblas_symm_hemm_kernelILb0ELb1ELi32E19rocblas_complex_numIfEPKPKS1_PKPS1_EvbiiT2_T3_lllSA_lllT4_llli
; %bb.0:
	s_load_dwordx4 s[12:15], s[4:5], 0x0
	s_load_dword s11, s[4:5], 0x10
	s_waitcnt lgkmcnt(0)
	v_cmp_eq_f32_e64 s[0:1], s15, 0
	v_cmp_eq_f32_e64 s[2:3], s11, 0
	s_and_b64 s[0:1], s[0:1], s[2:3]
	s_and_b64 vcc, exec, s[0:1]
	s_cbranch_vccnz .LBB49_13
; %bb.1:
	s_add_i32 s0, s14, -1
	s_ashr_i32 s1, s0, 31
	s_lshr_b32 s1, s1, 27
	s_add_i32 s0, s0, s1
	s_ashr_i32 s22, s0, 5
	s_cmp_gt_i32 s7, s22
	s_cbranch_scc1 .LBB49_13
; %bb.2:
	s_load_dwordx4 s[0:3], s[4:5], 0x18
	s_load_dwordx2 s[16:17], s[4:5], 0x28
	s_mov_b32 s9, 0
	s_lshl_b64 s[20:21], s[8:9], 3
	s_mov_b32 s10, s15
	s_waitcnt lgkmcnt(0)
	s_add_u32 s0, s0, s20
	s_addc_u32 s1, s1, s21
	s_load_dwordx2 s[34:35], s[0:1], 0x0
	s_load_dwordx4 s[24:27], s[4:5], 0x38
	s_load_dwordx2 s[8:9], s[4:5], 0x48
	s_load_dwordx2 s[18:19], s[4:5], 0x68
	s_load_dwordx4 s[28:31], s[4:5], 0x58
	s_lshl_b64 s[0:1], s[2:3], 3
	s_waitcnt lgkmcnt(0)
	s_add_u32 s15, s34, s0
	s_addc_u32 s23, s35, s1
	s_add_u32 s0, s24, s20
	s_addc_u32 s1, s25, s21
	;; [unrolled: 2-line block ×3, first 2 shown]
	s_load_dwordx2 s[20:21], s[2:3], 0x0
	s_load_dwordx2 s[24:25], s[0:1], 0x0
	s_bitcmp1_b32 s12, 0
	s_cselect_b64 s[0:1], -1, 0
	s_lshl_b64 s[2:3], s[30:31], 3
	s_waitcnt lgkmcnt(0)
	s_add_u32 s12, s20, s2
	v_and_b32_e32 v10, 0x3ff, v0
	s_addc_u32 s20, s21, s3
	s_lshl_b64 s[2:3], s[26:27], 3
	v_lshl_add_u32 v2, s6, 5, v10
	s_add_u32 s21, s24, s2
	v_ashrrev_i32_e32 v3, 31, v2
	s_addc_u32 s24, s25, s3
	v_bfe_u32 v11, v0, 10, 10
	v_lshlrev_b64 v[0:1], 3, v[2:3]
	s_load_dword s6, s[4:5], 0x84
	s_cmp_gt_i32 s14, 0
	v_cmp_gt_i32_e64 s[2:3], s13, v2
	v_mov_b32_e32 v2, s24
	v_add_co_u32_e32 v12, vcc, s21, v0
	v_addc_co_u32_e32 v13, vcc, v2, v1, vcc
	v_lshlrev_b32_e32 v2, 3, v11
	v_lshlrev_b32_e32 v14, 8, v10
	s_cselect_b64 s[4:5], -1, 0
	v_add_u32_e32 v15, v14, v2
	v_or_b32_e32 v16, 0x2000, v2
	v_mov_b32_e32 v2, s20
	v_add_co_u32_e32 v18, vcc, s12, v0
	v_cndmask_b32_e64 v0, 0, 1, s[4:5]
	v_add_u32_e32 v17, v16, v14
	v_addc_co_u32_e32 v19, vcc, v2, v1, vcc
	v_cmp_ne_u32_e64 s[4:5], 1, v0
	v_add_u32_e32 v20, 0x800, v16
	v_add_u32_e32 v21, 0x1000, v16
	;; [unrolled: 1-line block ×3, first 2 shown]
	s_branch .LBB49_4
.LBB49_3:                               ;   in Loop: Header=BB49_4 Depth=1
	s_waitcnt lgkmcnt(0)
	s_add_i32 s7, s7, s6
	s_cmp_gt_i32 s7, s22
	s_cbranch_scc1 .LBB49_13
.LBB49_4:                               ; =>This Loop Header: Depth=1
                                        ;     Child Loop BB49_7 Depth 2
	s_and_b64 vcc, exec, s[4:5]
	s_cbranch_vccnz .LBB49_3
; %bb.5:                                ;   in Loop: Header=BB49_4 Depth=1
	v_lshl_add_u32 v23, s7, 5, v11
	v_ashrrev_i32_e32 v0, 31, v23
	v_mul_lo_u32 v2, v0, s18
	v_mul_lo_u32 v3, v23, s19
	v_mad_u64_u32 v[0:1], s[20:21], v23, s18, 0
	v_add3_u32 v1, v1, v3, v2
	v_cmp_gt_i32_e32 vcc, s14, v23
	v_lshlrev_b64 v[0:1], 3, v[0:1]
	s_and_b64 s[12:13], s[2:3], vcc
	v_add_co_u32_e32 v8, vcc, v18, v0
	v_addc_co_u32_e32 v9, vcc, v19, v1, vcc
	s_mov_b32 s24, 0
	s_branch .LBB49_7
.LBB49_6:                               ;   in Loop: Header=BB49_7 Depth=2
	s_or_b64 exec, exec, s[20:21]
	s_add_i32 s24, s24, 32
	s_cmp_ge_i32 s24, s14
	s_barrier
	s_cbranch_scc1 .LBB49_3
.LBB49_7:                               ;   Parent Loop BB49_4 Depth=1
                                        ; =>  This Inner Loop Header: Depth=2
	v_add_u32_e32 v1, s24, v11
	v_cmp_gt_i32_e32 vcc, s14, v1
	s_and_b64 s[26:27], s[2:3], vcc
	v_mov_b32_e32 v0, 0
	v_mov_b32_e32 v2, 0
	;; [unrolled: 1-line block ×3, first 2 shown]
	s_and_saveexec_b64 s[20:21], s[26:27]
	s_cbranch_execz .LBB49_9
; %bb.8:                                ;   in Loop: Header=BB49_7 Depth=2
	v_ashrrev_i32_e32 v2, 31, v1
	v_mul_lo_u32 v4, v1, s9
	v_mul_lo_u32 v5, v2, s8
	v_mad_u64_u32 v[2:3], s[26:27], v1, s8, 0
	v_add3_u32 v3, v3, v4, v5
	v_lshlrev_b64 v[2:3], 3, v[2:3]
	v_add_co_u32_e32 v2, vcc, v12, v2
	v_addc_co_u32_e32 v3, vcc, v13, v3, vcc
	global_load_dwordx2 v[2:3], v[2:3], off
.LBB49_9:                               ;   in Loop: Header=BB49_7 Depth=2
	s_or_b64 exec, exec, s[20:21]
	v_add_u32_e32 v1, s24, v10
	s_waitcnt vmcnt(0)
	ds_write_b64 v15, v[2:3]
	v_cndmask_b32_e64 v2, v23, v1, s[0:1]
	v_cndmask_b32_e64 v3, v1, v23, s[0:1]
	v_cmp_gt_i32_e32 vcc, v2, v3
	v_cndmask_b32_e32 v2, v1, v23, vcc
	v_cndmask_b32_e32 v3, v23, v1, vcc
	v_max_i32_e32 v1, v2, v3
	v_cmp_gt_i32_e32 vcc, s14, v1
	v_mov_b32_e32 v1, 0
	s_and_saveexec_b64 s[20:21], vcc
	s_cbranch_execz .LBB49_11
; %bb.10:                               ;   in Loop: Header=BB49_7 Depth=2
	v_ashrrev_i32_e32 v0, 31, v3
	v_mul_lo_u32 v4, v3, s17
	v_mul_lo_u32 v5, v0, s16
	v_mad_u64_u32 v[0:1], s[26:27], v3, s16, 0
	v_add3_u32 v1, v1, v4, v5
	v_lshlrev_b64 v[0:1], 3, v[0:1]
	v_ashrrev_i32_e32 v3, 31, v2
	v_mov_b32_e32 v4, s23
	v_add_co_u32_e32 v5, vcc, s15, v0
	v_addc_co_u32_e32 v4, vcc, v4, v1, vcc
	v_lshlrev_b64 v[0:1], 3, v[2:3]
	v_add_co_u32_e32 v0, vcc, v5, v0
	v_addc_co_u32_e32 v1, vcc, v4, v1, vcc
	global_load_dwordx2 v[0:1], v[0:1], off
.LBB49_11:                              ;   in Loop: Header=BB49_7 Depth=2
	s_or_b64 exec, exec, s[20:21]
	s_waitcnt vmcnt(0)
	ds_write_b64 v17, v[0:1]
	s_waitcnt lgkmcnt(0)
	s_barrier
	s_and_saveexec_b64 s[20:21], s[12:13]
	s_cbranch_execz .LBB49_6
; %bb.12:                               ;   in Loop: Header=BB49_7 Depth=2
	ds_read2_b64 v[0:3], v16 offset1:32
	ds_read_b128 v[4:7], v14
	ds_read_b128 v[24:27], v14 offset:16
	ds_read_b128 v[28:31], v14 offset:32
	;; [unrolled: 1-line block ×3, first 2 shown]
	s_waitcnt lgkmcnt(3)
	v_mul_f32_e32 v36, v1, v5
	v_fma_f32 v36, v0, v4, -v36
	v_mul_f32_e32 v0, v0, v5
	v_fmac_f32_e32 v0, v1, v4
	v_add_f32_e32 v1, 0, v36
	ds_read2_b64 v[36:39], v16 offset0:64 offset1:96
	v_mul_f32_e32 v4, v3, v7
	v_fma_f32 v4, v2, v6, -v4
	v_mul_f32_e32 v2, v2, v7
	v_add_f32_e32 v0, 0, v0
	v_fmac_f32_e32 v2, v3, v6
	s_waitcnt lgkmcnt(0)
	v_mul_f32_e32 v3, v36, v25
	v_add_f32_e32 v0, v0, v2
	v_mul_f32_e32 v2, v37, v25
	v_fmac_f32_e32 v3, v37, v24
	v_add_f32_e32 v1, v1, v4
	v_fma_f32 v2, v36, v24, -v2
	v_add_f32_e32 v5, v0, v3
	v_mul_f32_e32 v0, v39, v27
	v_add_f32_e32 v4, v1, v2
	v_fma_f32 v6, v38, v26, -v0
	ds_read2_b64 v[0:3], v16 offset0:128 offset1:160
	v_mul_f32_e32 v7, v38, v27
	v_add_f32_e32 v4, v4, v6
	v_fmac_f32_e32 v7, v39, v26
	v_add_f32_e32 v5, v5, v7
	s_waitcnt lgkmcnt(0)
	v_mul_f32_e32 v6, v1, v29
	v_fma_f32 v6, v0, v28, -v6
	v_mul_f32_e32 v0, v0, v29
	v_fmac_f32_e32 v0, v1, v28
	v_add_f32_e32 v1, v4, v6
	v_mul_f32_e32 v4, v3, v31
	v_add_f32_e32 v0, v5, v0
	v_fma_f32 v24, v2, v30, -v4
	ds_read2_b64 v[4:7], v16 offset0:192 offset1:224
	v_mul_f32_e32 v2, v2, v31
	v_fmac_f32_e32 v2, v3, v30
	v_add_f32_e32 v0, v0, v2
	v_add_f32_e32 v1, v1, v24
	s_waitcnt lgkmcnt(0)
	v_mul_f32_e32 v3, v4, v33
	v_mul_f32_e32 v2, v5, v33
	v_fmac_f32_e32 v3, v5, v32
	v_fma_f32 v2, v4, v32, -v2
	v_add_f32_e32 v5, v0, v3
	v_mul_f32_e32 v0, v7, v35
	v_add_f32_e32 v4, v1, v2
	v_fma_f32 v28, v6, v34, -v0
	ds_read2_b64 v[0:3], v20 offset1:32
	ds_read_b128 v[24:27], v14 offset:64
	v_mul_f32_e32 v6, v6, v35
	v_fmac_f32_e32 v6, v7, v34
	v_add_f32_e32 v28, v4, v28
	v_add_f32_e32 v29, v5, v6
	s_waitcnt lgkmcnt(0)
	v_mul_f32_e32 v30, v1, v25
	v_fma_f32 v30, v0, v24, -v30
	v_mul_f32_e32 v0, v0, v25
	v_fmac_f32_e32 v0, v1, v24
	ds_read_b128 v[4:7], v14 offset:80
	v_add_f32_e32 v1, v28, v30
	v_add_f32_e32 v0, v29, v0
	ds_read2_b64 v[28:31], v20 offset0:64 offset1:96
	v_mul_f32_e32 v24, v3, v27
	v_fma_f32 v24, v2, v26, -v24
	v_mul_f32_e32 v2, v2, v27
	v_fmac_f32_e32 v2, v3, v26
	s_waitcnt lgkmcnt(0)
	v_mul_f32_e32 v3, v28, v5
	v_add_f32_e32 v0, v0, v2
	v_mul_f32_e32 v2, v29, v5
	v_fmac_f32_e32 v3, v29, v4
	v_add_f32_e32 v1, v1, v24
	v_fma_f32 v2, v28, v4, -v2
	v_add_f32_e32 v5, v0, v3
	v_mul_f32_e32 v0, v31, v7
	v_add_f32_e32 v4, v1, v2
	v_fma_f32 v28, v30, v6, -v0
	ds_read2_b64 v[0:3], v20 offset0:128 offset1:160
	ds_read_b128 v[24:27], v14 offset:96
	v_mul_f32_e32 v7, v30, v7
	v_fmac_f32_e32 v7, v31, v6
	v_add_f32_e32 v28, v4, v28
	v_add_f32_e32 v29, v5, v7
	s_waitcnt lgkmcnt(0)
	v_mul_f32_e32 v30, v1, v25
	v_fma_f32 v30, v0, v24, -v30
	v_mul_f32_e32 v0, v0, v25
	v_fmac_f32_e32 v0, v1, v24
	ds_read_b128 v[4:7], v14 offset:112
	v_add_f32_e32 v1, v28, v30
	v_add_f32_e32 v0, v29, v0
	ds_read2_b64 v[28:31], v20 offset0:192 offset1:224
	v_mul_f32_e32 v24, v3, v27
	v_fma_f32 v24, v2, v26, -v24
	v_mul_f32_e32 v2, v2, v27
	v_fmac_f32_e32 v2, v3, v26
	s_waitcnt lgkmcnt(0)
	v_mul_f32_e32 v3, v28, v5
	v_add_f32_e32 v0, v0, v2
	v_mul_f32_e32 v2, v29, v5
	v_fmac_f32_e32 v3, v29, v4
	v_add_f32_e32 v1, v1, v24
	v_fma_f32 v2, v28, v4, -v2
	v_add_f32_e32 v5, v0, v3
	v_mul_f32_e32 v0, v31, v7
	v_add_f32_e32 v4, v1, v2
	v_fma_f32 v28, v30, v6, -v0
	ds_read2_b64 v[0:3], v21 offset1:32
	ds_read_b128 v[24:27], v14 offset:128
	v_mul_f32_e32 v7, v30, v7
	v_fmac_f32_e32 v7, v31, v6
	v_add_f32_e32 v4, v4, v28
	ds_read_b128 v[28:31], v14 offset:144
	ds_read2_b64 v[32:35], v21 offset0:64 offset1:96
	s_waitcnt lgkmcnt(2)
	v_mul_f32_e32 v6, v1, v25
	v_fma_f32 v6, v0, v24, -v6
	v_mul_f32_e32 v0, v0, v25
	v_fmac_f32_e32 v0, v1, v24
	v_add_f32_e32 v1, v4, v6
	v_mul_f32_e32 v4, v3, v27
	v_add_f32_e32 v5, v5, v7
	v_fma_f32 v4, v2, v26, -v4
	v_mul_f32_e32 v2, v2, v27
	v_add_f32_e32 v0, v5, v0
	v_fmac_f32_e32 v2, v3, v26
	s_waitcnt lgkmcnt(0)
	v_mul_f32_e32 v3, v32, v29
	v_add_f32_e32 v0, v0, v2
	v_mul_f32_e32 v2, v33, v29
	v_fmac_f32_e32 v3, v33, v28
	v_add_f32_e32 v1, v1, v4
	v_fma_f32 v2, v32, v28, -v2
	v_add_f32_e32 v25, v0, v3
	v_mul_f32_e32 v0, v35, v31
	v_add_f32_e32 v24, v1, v2
	v_fma_f32 v26, v34, v30, -v0
	ds_read2_b64 v[0:3], v21 offset0:128 offset1:160
	ds_read_b128 v[4:7], v14 offset:160
	global_load_dwordx2 v[32:33], v[8:9], off
	v_mul_f32_e32 v27, v34, v31
	v_fmac_f32_e32 v27, v35, v30
	v_add_f32_e32 v28, v24, v26
	s_waitcnt lgkmcnt(0)
	v_mul_f32_e32 v30, v1, v5
	v_fma_f32 v30, v0, v4, -v30
	v_mul_f32_e32 v0, v0, v5
	v_add_f32_e32 v29, v25, v27
	v_fmac_f32_e32 v0, v1, v4
	ds_read_b128 v[24:27], v14 offset:176
	v_add_f32_e32 v1, v28, v30
	v_add_f32_e32 v0, v29, v0
	ds_read2_b64 v[28:31], v21 offset0:192 offset1:224
	v_mul_f32_e32 v4, v3, v7
	v_fma_f32 v4, v2, v6, -v4
	v_mul_f32_e32 v2, v2, v7
	v_fmac_f32_e32 v2, v3, v6
	s_waitcnt lgkmcnt(0)
	v_mul_f32_e32 v3, v28, v25
	v_add_f32_e32 v0, v0, v2
	v_mul_f32_e32 v2, v29, v25
	v_fmac_f32_e32 v3, v29, v24
	v_add_f32_e32 v1, v1, v4
	v_fma_f32 v2, v28, v24, -v2
	v_add_f32_e32 v25, v0, v3
	v_mul_f32_e32 v0, v31, v27
	v_add_f32_e32 v24, v1, v2
	v_fma_f32 v28, v30, v26, -v0
	ds_read2_b64 v[0:3], v22 offset1:32
	ds_read_b128 v[4:7], v14 offset:192
	v_mul_f32_e32 v27, v30, v27
	v_fmac_f32_e32 v27, v31, v26
	v_add_f32_e32 v28, v24, v28
	v_add_f32_e32 v29, v25, v27
	s_waitcnt lgkmcnt(0)
	v_mul_f32_e32 v30, v1, v5
	v_fma_f32 v30, v0, v4, -v30
	v_mul_f32_e32 v0, v0, v5
	v_fmac_f32_e32 v0, v1, v4
	ds_read_b128 v[24:27], v14 offset:208
	v_add_f32_e32 v1, v28, v30
	v_add_f32_e32 v0, v29, v0
	ds_read2_b64 v[28:31], v22 offset0:64 offset1:96
	v_mul_f32_e32 v4, v3, v7
	v_fma_f32 v4, v2, v6, -v4
	v_mul_f32_e32 v2, v2, v7
	v_fmac_f32_e32 v2, v3, v6
	s_waitcnt lgkmcnt(0)
	v_mul_f32_e32 v3, v28, v25
	v_add_f32_e32 v0, v0, v2
	v_mul_f32_e32 v2, v29, v25
	v_fmac_f32_e32 v3, v29, v24
	v_add_f32_e32 v1, v1, v4
	v_fma_f32 v2, v28, v24, -v2
	v_add_f32_e32 v25, v0, v3
	v_mul_f32_e32 v0, v31, v27
	v_add_f32_e32 v24, v1, v2
	v_fma_f32 v28, v30, v26, -v0
	ds_read2_b64 v[0:3], v22 offset0:128 offset1:160
	ds_read_b128 v[4:7], v14 offset:224
	v_mul_f32_e32 v27, v30, v27
	v_fmac_f32_e32 v27, v31, v26
	v_add_f32_e32 v28, v24, v28
	v_add_f32_e32 v29, v25, v27
	s_waitcnt lgkmcnt(0)
	v_mul_f32_e32 v30, v1, v5
	v_fma_f32 v30, v0, v4, -v30
	v_mul_f32_e32 v0, v0, v5
	v_fmac_f32_e32 v0, v1, v4
	ds_read_b128 v[24:27], v14 offset:240
	v_add_f32_e32 v1, v28, v30
	v_add_f32_e32 v0, v29, v0
	ds_read2_b64 v[28:31], v22 offset0:192 offset1:224
	v_mul_f32_e32 v4, v3, v7
	v_fma_f32 v4, v2, v6, -v4
	v_mul_f32_e32 v2, v2, v7
	v_fmac_f32_e32 v2, v3, v6
	v_add_f32_e32 v0, v0, v2
	s_waitcnt lgkmcnt(0)
	v_mul_f32_e32 v2, v29, v25
	v_mul_f32_e32 v3, v28, v25
	v_add_f32_e32 v1, v1, v4
	v_fma_f32 v2, v28, v24, -v2
	v_fmac_f32_e32 v3, v29, v24
	v_add_f32_e32 v1, v1, v2
	v_add_f32_e32 v2, v0, v3
	v_mul_f32_e32 v3, v30, v27
	v_mul_f32_e32 v0, v31, v27
	v_fmac_f32_e32 v3, v31, v26
	v_fma_f32 v0, v30, v26, -v0
	v_add_f32_e32 v2, v2, v3
	v_add_f32_e32 v0, v1, v0
	v_pk_mul_f32 v[2:3], s[10:11], v[2:3] op_sel_hi:[1,0]
	v_pk_fma_f32 v[4:5], s[10:11], v[0:1], v[2:3] op_sel:[0,0,1] op_sel_hi:[1,1,0] neg_lo:[0,0,1] neg_hi:[0,0,1]
	v_pk_fma_f32 v[0:1], s[10:11], v[0:1], v[2:3] op_sel:[0,0,1] op_sel_hi:[1,0,0]
	v_mov_b32_e32 v5, v1
	s_waitcnt vmcnt(0)
	v_pk_add_f32 v[0:1], v[32:33], v[4:5]
	global_store_dwordx2 v[8:9], v[0:1], off
	s_branch .LBB49_6
.LBB49_13:
	s_endpgm
	.section	.rodata,"a",@progbits
	.p2align	6, 0x0
	.amdhsa_kernel _ZL24rocblas_symm_hemm_kernelILb0ELb1ELi32E19rocblas_complex_numIfEPKPKS1_PKPS1_EvbiiT2_T3_lllSA_lllT4_llli
		.amdhsa_group_segment_fixed_size 16384
		.amdhsa_private_segment_fixed_size 0
		.amdhsa_kernarg_size 384
		.amdhsa_user_sgpr_count 6
		.amdhsa_user_sgpr_private_segment_buffer 1
		.amdhsa_user_sgpr_dispatch_ptr 0
		.amdhsa_user_sgpr_queue_ptr 0
		.amdhsa_user_sgpr_kernarg_segment_ptr 1
		.amdhsa_user_sgpr_dispatch_id 0
		.amdhsa_user_sgpr_flat_scratch_init 0
		.amdhsa_user_sgpr_kernarg_preload_length 0
		.amdhsa_user_sgpr_kernarg_preload_offset 0
		.amdhsa_user_sgpr_private_segment_size 0
		.amdhsa_uses_dynamic_stack 0
		.amdhsa_system_sgpr_private_segment_wavefront_offset 0
		.amdhsa_system_sgpr_workgroup_id_x 1
		.amdhsa_system_sgpr_workgroup_id_y 1
		.amdhsa_system_sgpr_workgroup_id_z 1
		.amdhsa_system_sgpr_workgroup_info 0
		.amdhsa_system_vgpr_workitem_id 1
		.amdhsa_next_free_vgpr 40
		.amdhsa_next_free_sgpr 36
		.amdhsa_accum_offset 40
		.amdhsa_reserve_vcc 1
		.amdhsa_reserve_flat_scratch 0
		.amdhsa_float_round_mode_32 0
		.amdhsa_float_round_mode_16_64 0
		.amdhsa_float_denorm_mode_32 3
		.amdhsa_float_denorm_mode_16_64 3
		.amdhsa_dx10_clamp 1
		.amdhsa_ieee_mode 1
		.amdhsa_fp16_overflow 0
		.amdhsa_tg_split 0
		.amdhsa_exception_fp_ieee_invalid_op 0
		.amdhsa_exception_fp_denorm_src 0
		.amdhsa_exception_fp_ieee_div_zero 0
		.amdhsa_exception_fp_ieee_overflow 0
		.amdhsa_exception_fp_ieee_underflow 0
		.amdhsa_exception_fp_ieee_inexact 0
		.amdhsa_exception_int_div_zero 0
	.end_amdhsa_kernel
	.section	.text._ZL24rocblas_symm_hemm_kernelILb0ELb1ELi32E19rocblas_complex_numIfEPKPKS1_PKPS1_EvbiiT2_T3_lllSA_lllT4_llli,"axG",@progbits,_ZL24rocblas_symm_hemm_kernelILb0ELb1ELi32E19rocblas_complex_numIfEPKPKS1_PKPS1_EvbiiT2_T3_lllSA_lllT4_llli,comdat
.Lfunc_end49:
	.size	_ZL24rocblas_symm_hemm_kernelILb0ELb1ELi32E19rocblas_complex_numIfEPKPKS1_PKPS1_EvbiiT2_T3_lllSA_lllT4_llli, .Lfunc_end49-_ZL24rocblas_symm_hemm_kernelILb0ELb1ELi32E19rocblas_complex_numIfEPKPKS1_PKPS1_EvbiiT2_T3_lllSA_lllT4_llli
                                        ; -- End function
	.section	.AMDGPU.csdata,"",@progbits
; Kernel info:
; codeLenInByte = 2068
; NumSgprs: 40
; NumVgprs: 40
; NumAgprs: 0
; TotalNumVgprs: 40
; ScratchSize: 0
; MemoryBound: 0
; FloatMode: 240
; IeeeMode: 1
; LDSByteSize: 16384 bytes/workgroup (compile time only)
; SGPRBlocks: 4
; VGPRBlocks: 4
; NumSGPRsForWavesPerEU: 40
; NumVGPRsForWavesPerEU: 40
; AccumOffset: 40
; Occupancy: 8
; WaveLimiterHint : 1
; COMPUTE_PGM_RSRC2:SCRATCH_EN: 0
; COMPUTE_PGM_RSRC2:USER_SGPR: 6
; COMPUTE_PGM_RSRC2:TRAP_HANDLER: 0
; COMPUTE_PGM_RSRC2:TGID_X_EN: 1
; COMPUTE_PGM_RSRC2:TGID_Y_EN: 1
; COMPUTE_PGM_RSRC2:TGID_Z_EN: 1
; COMPUTE_PGM_RSRC2:TIDIG_COMP_CNT: 1
; COMPUTE_PGM_RSRC3_GFX90A:ACCUM_OFFSET: 9
; COMPUTE_PGM_RSRC3_GFX90A:TG_SPLIT: 0
	.section	.text._ZL25rocblas_symm_scale_kernelILi128ELi8EPK19rocblas_complex_numIdEPKPS1_EviiT1_T2_llli,"axG",@progbits,_ZL25rocblas_symm_scale_kernelILi128ELi8EPK19rocblas_complex_numIdEPKPS1_EviiT1_T2_llli,comdat
	.globl	_ZL25rocblas_symm_scale_kernelILi128ELi8EPK19rocblas_complex_numIdEPKPS1_EviiT1_T2_llli ; -- Begin function _ZL25rocblas_symm_scale_kernelILi128ELi8EPK19rocblas_complex_numIdEPKPS1_EviiT1_T2_llli
	.p2align	8
	.type	_ZL25rocblas_symm_scale_kernelILi128ELi8EPK19rocblas_complex_numIdEPKPS1_EviiT1_T2_llli,@function
_ZL25rocblas_symm_scale_kernelILi128ELi8EPK19rocblas_complex_numIdEPKPS1_EviiT1_T2_llli: ; @_ZL25rocblas_symm_scale_kernelILi128ELi8EPK19rocblas_complex_numIdEPKPS1_EviiT1_T2_llli
; %bb.0:
	s_load_dwordx8 s[12:19], s[4:5], 0x8
	s_waitcnt lgkmcnt(0)
	s_load_dwordx4 s[20:23], s[12:13], 0x0
	s_waitcnt lgkmcnt(0)
	v_cmp_eq_f64_e64 s[0:1], s[20:21], 1.0
	v_cmp_eq_f64_e64 s[2:3], s[22:23], 0
	s_and_b64 s[0:1], s[0:1], s[2:3]
	s_and_b64 vcc, exec, s[0:1]
	s_cbranch_vccnz .LBB50_6
; %bb.1:
	s_load_dwordx2 s[0:1], s[4:5], 0x0
	v_and_b32_e32 v1, 0x3ff, v0
	v_bfe_u32 v0, v0, 10, 10
	v_lshl_add_u32 v2, s6, 7, v1
	v_lshl_add_u32 v4, s7, 3, v0
	v_mov_b32_e32 v5, 0
	s_waitcnt lgkmcnt(0)
	s_ashr_i32 s3, s1, 31
	s_mov_b32 s2, s1
	v_cmp_gt_u32_e32 vcc, s0, v2
	v_cmp_gt_i64_e64 s[0:1], s[2:3], v[4:5]
	s_and_b64 s[0:1], vcc, s[0:1]
	s_and_saveexec_b64 s[6:7], s[0:1]
	s_cbranch_execz .LBB50_6
; %bb.2:
	s_mov_b32 s9, 0
	s_lshl_b64 s[0:1], s[8:9], 3
	v_mad_u64_u32 v[0:1], s[12:13], s18, v4, 0
	s_add_u32 s0, s14, s0
	v_mov_b32_e32 v6, v1
	s_addc_u32 s1, s15, s1
	v_mad_u64_u32 v[6:7], s[12:13], s19, v4, v[6:7]
	s_load_dwordx2 s[6:7], s[0:1], 0x0
	s_load_dword s8, s[4:5], 0x3c
	v_mov_b32_e32 v1, v6
	v_lshlrev_b64 v[0:1], 4, v[0:1]
	s_lshl_b64 s[12:13], s[16:17], 4
	v_mov_b32_e32 v3, v5
	v_mov_b32_e32 v6, s13
	v_add_co_u32_e32 v7, vcc, s12, v0
	v_addc_co_u32_e32 v6, vcc, v1, v6, vcc
	v_lshlrev_b64 v[0:1], 4, v[2:3]
	v_add_co_u32_e32 v0, vcc, v7, v0
	s_waitcnt lgkmcnt(0)
	s_lshl_b32 s8, s8, 3
	v_addc_co_u32_e32 v1, vcc, v6, v1, vcc
	v_cmp_neq_f64_e64 s[0:1], s[20:21], 0
	v_cmp_neq_f64_e64 s[10:11], s[22:23], 0
	v_mov_b32_e32 v2, s7
	v_add_co_u32_e32 v0, vcc, s6, v0
	s_mul_i32 s6, s19, s8
	s_mul_hi_u32 s7, s18, s8
	v_addc_co_u32_e32 v1, vcc, v1, v2, vcc
	s_add_i32 s7, s7, s6
	s_mul_i32 s6, s18, s8
	s_or_b64 s[0:1], s[0:1], s[10:11]
	v_add_co_u32_e32 v6, vcc, 8, v0
	s_lshl_b64 s[6:7], s[6:7], 4
	v_cndmask_b32_e64 v0, 0, 1, s[0:1]
	s_mov_b64 s[4:5], 0
	v_addc_co_u32_e32 v7, vcc, 0, v1, vcc
	v_cmp_ne_u32_e64 s[0:1], 1, v0
	v_mov_b32_e32 v8, s9
	v_mov_b32_e32 v9, s7
	s_branch .LBB50_4
.LBB50_3:                               ;   in Loop: Header=BB50_4 Depth=1
	v_add_co_u32_e32 v4, vcc, s8, v4
	v_addc_co_u32_e32 v5, vcc, v5, v8, vcc
	v_cmp_le_i64_e32 vcc, s[2:3], v[4:5]
	global_store_dwordx4 v[6:7], v[0:3], off offset:-8
	s_or_b64 s[4:5], vcc, s[4:5]
	v_add_co_u32_e32 v6, vcc, s6, v6
	v_addc_co_u32_e32 v7, vcc, v7, v9, vcc
	s_andn2_b64 exec, exec, s[4:5]
	s_cbranch_execz .LBB50_6
.LBB50_4:                               ; =>This Inner Loop Header: Depth=1
	v_pk_mov_b32 v[2:3], 0, 0
	s_and_b64 vcc, exec, s[0:1]
	v_pk_mov_b32 v[0:1], v[2:3], v[2:3] op_sel:[0,1]
	s_cbranch_vccnz .LBB50_3
; %bb.5:                                ;   in Loop: Header=BB50_4 Depth=1
	global_load_dwordx4 v[10:13], v[6:7], off offset:-8
	s_waitcnt vmcnt(0)
	v_mul_f64 v[0:1], s[22:23], v[12:13]
	v_mul_f64 v[2:3], s[20:21], v[12:13]
	v_fma_f64 v[0:1], s[20:21], v[10:11], -v[0:1]
	v_fmac_f64_e32 v[2:3], s[22:23], v[10:11]
	s_branch .LBB50_3
.LBB50_6:
	s_endpgm
	.section	.rodata,"a",@progbits
	.p2align	6, 0x0
	.amdhsa_kernel _ZL25rocblas_symm_scale_kernelILi128ELi8EPK19rocblas_complex_numIdEPKPS1_EviiT1_T2_llli
		.amdhsa_group_segment_fixed_size 0
		.amdhsa_private_segment_fixed_size 0
		.amdhsa_kernarg_size 312
		.amdhsa_user_sgpr_count 6
		.amdhsa_user_sgpr_private_segment_buffer 1
		.amdhsa_user_sgpr_dispatch_ptr 0
		.amdhsa_user_sgpr_queue_ptr 0
		.amdhsa_user_sgpr_kernarg_segment_ptr 1
		.amdhsa_user_sgpr_dispatch_id 0
		.amdhsa_user_sgpr_flat_scratch_init 0
		.amdhsa_user_sgpr_kernarg_preload_length 0
		.amdhsa_user_sgpr_kernarg_preload_offset 0
		.amdhsa_user_sgpr_private_segment_size 0
		.amdhsa_uses_dynamic_stack 0
		.amdhsa_system_sgpr_private_segment_wavefront_offset 0
		.amdhsa_system_sgpr_workgroup_id_x 1
		.amdhsa_system_sgpr_workgroup_id_y 1
		.amdhsa_system_sgpr_workgroup_id_z 1
		.amdhsa_system_sgpr_workgroup_info 0
		.amdhsa_system_vgpr_workitem_id 1
		.amdhsa_next_free_vgpr 14
		.amdhsa_next_free_sgpr 24
		.amdhsa_accum_offset 16
		.amdhsa_reserve_vcc 1
		.amdhsa_reserve_flat_scratch 0
		.amdhsa_float_round_mode_32 0
		.amdhsa_float_round_mode_16_64 0
		.amdhsa_float_denorm_mode_32 3
		.amdhsa_float_denorm_mode_16_64 3
		.amdhsa_dx10_clamp 1
		.amdhsa_ieee_mode 1
		.amdhsa_fp16_overflow 0
		.amdhsa_tg_split 0
		.amdhsa_exception_fp_ieee_invalid_op 0
		.amdhsa_exception_fp_denorm_src 0
		.amdhsa_exception_fp_ieee_div_zero 0
		.amdhsa_exception_fp_ieee_overflow 0
		.amdhsa_exception_fp_ieee_underflow 0
		.amdhsa_exception_fp_ieee_inexact 0
		.amdhsa_exception_int_div_zero 0
	.end_amdhsa_kernel
	.section	.text._ZL25rocblas_symm_scale_kernelILi128ELi8EPK19rocblas_complex_numIdEPKPS1_EviiT1_T2_llli,"axG",@progbits,_ZL25rocblas_symm_scale_kernelILi128ELi8EPK19rocblas_complex_numIdEPKPS1_EviiT1_T2_llli,comdat
.Lfunc_end50:
	.size	_ZL25rocblas_symm_scale_kernelILi128ELi8EPK19rocblas_complex_numIdEPKPS1_EviiT1_T2_llli, .Lfunc_end50-_ZL25rocblas_symm_scale_kernelILi128ELi8EPK19rocblas_complex_numIdEPKPS1_EviiT1_T2_llli
                                        ; -- End function
	.section	.AMDGPU.csdata,"",@progbits
; Kernel info:
; codeLenInByte = 444
; NumSgprs: 28
; NumVgprs: 14
; NumAgprs: 0
; TotalNumVgprs: 14
; ScratchSize: 0
; MemoryBound: 0
; FloatMode: 240
; IeeeMode: 1
; LDSByteSize: 0 bytes/workgroup (compile time only)
; SGPRBlocks: 3
; VGPRBlocks: 1
; NumSGPRsForWavesPerEU: 28
; NumVGPRsForWavesPerEU: 14
; AccumOffset: 16
; Occupancy: 8
; WaveLimiterHint : 0
; COMPUTE_PGM_RSRC2:SCRATCH_EN: 0
; COMPUTE_PGM_RSRC2:USER_SGPR: 6
; COMPUTE_PGM_RSRC2:TRAP_HANDLER: 0
; COMPUTE_PGM_RSRC2:TGID_X_EN: 1
; COMPUTE_PGM_RSRC2:TGID_Y_EN: 1
; COMPUTE_PGM_RSRC2:TGID_Z_EN: 1
; COMPUTE_PGM_RSRC2:TIDIG_COMP_CNT: 1
; COMPUTE_PGM_RSRC3_GFX90A:ACCUM_OFFSET: 3
; COMPUTE_PGM_RSRC3_GFX90A:TG_SPLIT: 0
	.section	.text._ZL24rocblas_symm_hemm_kernelILb0ELb0ELi32EPK19rocblas_complex_numIdEPKS3_PKPS1_EvbiiT2_T3_lllSA_lllT4_llli,"axG",@progbits,_ZL24rocblas_symm_hemm_kernelILb0ELb0ELi32EPK19rocblas_complex_numIdEPKS3_PKPS1_EvbiiT2_T3_lllSA_lllT4_llli,comdat
	.globl	_ZL24rocblas_symm_hemm_kernelILb0ELb0ELi32EPK19rocblas_complex_numIdEPKS3_PKPS1_EvbiiT2_T3_lllSA_lllT4_llli ; -- Begin function _ZL24rocblas_symm_hemm_kernelILb0ELb0ELi32EPK19rocblas_complex_numIdEPKS3_PKPS1_EvbiiT2_T3_lllSA_lllT4_llli
	.p2align	8
	.type	_ZL24rocblas_symm_hemm_kernelILb0ELb0ELi32EPK19rocblas_complex_numIdEPKS3_PKPS1_EvbiiT2_T3_lllSA_lllT4_llli,@function
_ZL24rocblas_symm_hemm_kernelILb0ELb0ELi32EPK19rocblas_complex_numIdEPKS3_PKPS1_EvbiiT2_T3_lllSA_lllT4_llli: ; @_ZL24rocblas_symm_hemm_kernelILb0ELb0ELi32EPK19rocblas_complex_numIdEPKS3_PKPS1_EvbiiT2_T3_lllSA_lllT4_llli
; %bb.0:
	s_load_dwordx8 s[12:19], s[4:5], 0x10
	s_waitcnt lgkmcnt(0)
	s_load_dwordx4 s[20:23], s[12:13], 0x0
	s_waitcnt lgkmcnt(0)
	v_cmp_eq_f64_e64 s[0:1], s[20:21], 0
	v_cmp_eq_f64_e64 s[2:3], s[22:23], 0
	s_and_b64 s[0:1], s[0:1], s[2:3]
	s_and_b64 vcc, exec, s[0:1]
	s_cbranch_vccnz .LBB51_13
; %bb.1:
	s_load_dwordx4 s[24:27], s[4:5], 0x0
	s_waitcnt lgkmcnt(0)
	s_add_i32 s0, s26, -1
	s_ashr_i32 s1, s0, 31
	s_lshr_b32 s1, s1, 27
	s_add_i32 s0, s0, s1
	s_ashr_i32 s27, s0, 5
	s_cmp_gt_i32 s7, s27
	s_cbranch_scc1 .LBB51_13
; %bb.2:
	s_mov_b32 s9, 0
	s_lshl_b64 s[8:9], s[8:9], 3
	s_add_u32 s12, s14, s8
	s_addc_u32 s13, s15, s9
	s_load_dwordx2 s[14:15], s[12:13], 0x0
	s_load_dwordx4 s[0:3], s[4:5], 0x38
	s_load_dwordx2 s[10:11], s[4:5], 0x48
	s_lshl_b64 s[12:13], s[16:17], 4
	v_and_b32_e32 v26, 0x3ff, v0
	s_waitcnt lgkmcnt(0)
	s_add_u32 s28, s14, s12
	s_addc_u32 s29, s15, s13
	s_add_u32 s0, s0, s8
	s_addc_u32 s1, s1, s9
	s_load_dwordx2 s[14:15], s[0:1], 0x0
	s_load_dwordx4 s[36:39], s[4:5], 0x58
	s_load_dwordx2 s[12:13], s[4:5], 0x68
	s_lshl_b64 s[0:1], s[2:3], 4
	v_lshl_add_u32 v16, s6, 5, v26
	s_waitcnt lgkmcnt(0)
	s_add_u32 s30, s14, s0
	s_addc_u32 s31, s15, s1
	s_add_u32 s0, s36, s8
	s_addc_u32 s1, s37, s9
	s_load_dwordx2 s[2:3], s[0:1], 0x0
	s_bitcmp1_b32 s24, 0
	s_cselect_b64 s[0:1], -1, 0
	s_lshl_b64 s[8:9], s[38:39], 4
	v_bfe_u32 v27, v0, 10, 10
	s_waitcnt lgkmcnt(0)
	s_add_u32 s8, s2, s8
	s_addc_u32 s6, s3, s9
	v_mov_b32_e32 v2, s6
	s_load_dword s6, s[4:5], 0x84
	s_cmp_gt_i32 s25, 0
	v_lshlrev_b32_e32 v0, 4, v27
	v_lshlrev_b32_e32 v28, 9, v26
	v_ashrrev_i32_e32 v17, 31, v16
	v_add_u32_e32 v29, v28, v0
	v_or_b32_e32 v30, 0x4000, v0
	v_lshlrev_b64 v[0:1], 4, v[16:17]
	s_cselect_b64 s[4:5], -1, 0
	v_add_co_u32_e32 v17, vcc, s8, v0
	v_cndmask_b32_e64 v0, 0, 1, s[4:5]
	v_add_u32_e32 v31, v30, v28
	v_cmp_gt_i32_e64 s[2:3], s25, v16
	v_addc_co_u32_e32 v32, vcc, v2, v1, vcc
	v_cmp_ne_u32_e64 s[4:5], 1, v0
	s_branch .LBB51_4
.LBB51_3:                               ;   in Loop: Header=BB51_4 Depth=1
	s_waitcnt lgkmcnt(0)
	s_add_i32 s7, s7, s6
	s_cmp_gt_i32 s7, s27
	s_cbranch_scc1 .LBB51_13
.LBB51_4:                               ; =>This Loop Header: Depth=1
                                        ;     Child Loop BB51_7 Depth 2
	s_and_b64 vcc, exec, s[4:5]
	s_cbranch_vccnz .LBB51_3
; %bb.5:                                ;   in Loop: Header=BB51_4 Depth=1
	v_lshl_add_u32 v2, s7, 5, v27
	v_ashrrev_i32_e32 v3, 31, v2
	v_mul_lo_u32 v4, v3, s10
	v_mul_lo_u32 v5, v2, s11
	v_mad_u64_u32 v[0:1], s[8:9], v2, s10, 0
	v_add3_u32 v1, v1, v5, v4
	v_lshlrev_b64 v[0:1], 4, v[0:1]
	v_mov_b32_e32 v4, s31
	v_add_co_u32_e64 v33, s[8:9], s30, v0
	v_addc_co_u32_e64 v34, s[8:9], v4, v1, s[8:9]
	v_mul_lo_u32 v3, v3, s12
	v_mul_lo_u32 v4, v2, s13
	v_mad_u64_u32 v[0:1], s[8:9], v2, s12, 0
	v_add3_u32 v1, v1, v4, v3
	v_lshlrev_b64 v[0:1], 4, v[0:1]
	v_cmp_gt_i32_e32 vcc, s26, v2
	v_add_co_u32_e64 v18, s[8:9], v17, v0
	s_and_b64 s[14:15], s[2:3], vcc
	v_addc_co_u32_e64 v19, s[8:9], v32, v1, s[8:9]
	s_mov_b32 s24, 0
	s_branch .LBB51_7
.LBB51_6:                               ;   in Loop: Header=BB51_7 Depth=2
	s_or_b64 exec, exec, s[8:9]
	s_add_i32 s24, s24, 32
	s_cmp_ge_i32 s24, s25
	s_barrier
	s_cbranch_scc1 .LBB51_3
.LBB51_7:                               ;   Parent Loop BB51_4 Depth=1
                                        ; =>  This Inner Loop Header: Depth=2
	v_add_u32_e32 v0, s24, v27
	v_cndmask_b32_e64 v1, v0, v16, s[0:1]
	v_cndmask_b32_e64 v2, v16, v0, s[0:1]
	v_cmp_gt_i32_e64 s[8:9], v1, v2
	v_cndmask_b32_e64 v6, v16, v0, s[8:9]
	v_cndmask_b32_e64 v7, v0, v16, s[8:9]
	v_max_i32_e32 v0, v6, v7
	v_cmp_gt_i32_e64 s[8:9], s25, v0
	v_pk_mov_b32 v[0:1], 0, 0
	v_pk_mov_b32 v[2:3], v[0:1], v[0:1] op_sel:[0,1]
	v_pk_mov_b32 v[4:5], v[0:1], v[0:1] op_sel:[0,1]
	s_and_saveexec_b64 s[16:17], s[8:9]
	s_cbranch_execz .LBB51_9
; %bb.8:                                ;   in Loop: Header=BB51_7 Depth=2
	v_ashrrev_i32_e32 v2, 31, v7
	v_mul_lo_u32 v4, v7, s19
	v_mul_lo_u32 v5, v2, s18
	v_mad_u64_u32 v[2:3], s[8:9], v7, s18, 0
	v_add3_u32 v3, v3, v4, v5
	v_lshlrev_b64 v[2:3], 4, v[2:3]
	v_ashrrev_i32_e32 v7, 31, v6
	v_mov_b32_e32 v4, s29
	v_add_co_u32_e64 v5, s[8:9], s28, v2
	v_addc_co_u32_e64 v4, s[8:9], v4, v3, s[8:9]
	v_lshlrev_b64 v[2:3], 4, v[6:7]
	v_add_co_u32_e64 v2, s[8:9], v5, v2
	v_addc_co_u32_e64 v3, s[8:9], v4, v3, s[8:9]
	global_load_dwordx4 v[2:5], v[2:3], off
.LBB51_9:                               ;   in Loop: Header=BB51_7 Depth=2
	s_or_b64 exec, exec, s[16:17]
	s_waitcnt vmcnt(0)
	ds_write_b128 v29, v[2:5]
	v_add_u32_e32 v4, s24, v26
	v_cmp_gt_i32_e64 s[8:9], s25, v4
	s_and_b64 s[8:9], s[8:9], vcc
	v_pk_mov_b32 v[2:3], v[0:1], v[0:1] op_sel:[0,1]
	s_and_saveexec_b64 s[16:17], s[8:9]
	s_cbranch_execz .LBB51_11
; %bb.10:                               ;   in Loop: Header=BB51_7 Depth=2
	v_ashrrev_i32_e32 v5, 31, v4
	v_lshlrev_b64 v[0:1], 4, v[4:5]
	v_add_co_u32_e64 v0, s[8:9], v33, v0
	v_addc_co_u32_e64 v1, s[8:9], v34, v1, s[8:9]
	global_load_dwordx4 v[0:3], v[0:1], off
.LBB51_11:                              ;   in Loop: Header=BB51_7 Depth=2
	s_or_b64 exec, exec, s[16:17]
	s_waitcnt vmcnt(0)
	ds_write_b128 v31, v[0:3]
	s_waitcnt lgkmcnt(0)
	s_barrier
	s_and_saveexec_b64 s[8:9], s[14:15]
	s_cbranch_execz .LBB51_6
; %bb.12:                               ;   in Loop: Header=BB51_7 Depth=2
	ds_read_b128 v[0:3], v30
	ds_read_b128 v[4:7], v28
	ds_read_b128 v[8:11], v28 offset:16
	ds_read_b128 v[12:15], v28 offset:32
	;; [unrolled: 1-line block ×4, first 2 shown]
	s_waitcnt lgkmcnt(4)
	v_mul_f64 v[24:25], v[2:3], v[6:7]
	v_fma_f64 v[24:25], v[0:1], v[4:5], -v[24:25]
	v_mul_f64 v[0:1], v[0:1], v[6:7]
	v_fmac_f64_e32 v[0:1], v[2:3], v[4:5]
	v_add_f64 v[6:7], v[0:1], 0
	s_waitcnt lgkmcnt(0)
	v_mul_f64 v[0:1], v[38:39], v[10:11]
	v_add_f64 v[4:5], v[24:25], 0
	v_fma_f64 v[24:25], v[36:37], v[8:9], -v[0:1]
	ds_read_b128 v[0:3], v30 offset:1024
	v_mul_f64 v[10:11], v[36:37], v[10:11]
	v_fmac_f64_e32 v[10:11], v[38:39], v[8:9]
	v_add_f64 v[8:9], v[4:5], v[24:25]
	v_add_f64 v[10:11], v[6:7], v[10:11]
	ds_read_b128 v[4:7], v30 offset:1536
	s_waitcnt lgkmcnt(1)
	v_mul_f64 v[24:25], v[2:3], v[14:15]
	v_fma_f64 v[24:25], v[0:1], v[12:13], -v[24:25]
	v_mul_f64 v[0:1], v[0:1], v[14:15]
	v_fmac_f64_e32 v[0:1], v[2:3], v[12:13]
	v_add_f64 v[10:11], v[10:11], v[0:1]
	s_waitcnt lgkmcnt(0)
	v_mul_f64 v[0:1], v[6:7], v[22:23]
	v_mul_f64 v[14:15], v[4:5], v[22:23]
	v_add_f64 v[8:9], v[8:9], v[24:25]
	v_fma_f64 v[12:13], v[4:5], v[20:21], -v[0:1]
	v_fmac_f64_e32 v[14:15], v[6:7], v[20:21]
	ds_read_b128 v[0:3], v28 offset:64
	ds_read_b128 v[4:7], v30 offset:2048
	v_add_f64 v[20:21], v[8:9], v[12:13]
	v_add_f64 v[22:23], v[10:11], v[14:15]
	ds_read_b128 v[8:11], v30 offset:2560
	ds_read_b128 v[12:15], v28 offset:80
	s_waitcnt lgkmcnt(2)
	v_mul_f64 v[24:25], v[6:7], v[2:3]
	v_mul_f64 v[2:3], v[4:5], v[2:3]
	v_fma_f64 v[24:25], v[4:5], v[0:1], -v[24:25]
	v_fmac_f64_e32 v[2:3], v[6:7], v[0:1]
	s_waitcnt lgkmcnt(0)
	v_mul_f64 v[0:1], v[10:11], v[14:15]
	v_add_f64 v[20:21], v[20:21], v[24:25]
	v_fma_f64 v[24:25], v[8:9], v[12:13], -v[0:1]
	v_mul_f64 v[8:9], v[8:9], v[14:15]
	v_add_f64 v[22:23], v[22:23], v[2:3]
	v_fmac_f64_e32 v[8:9], v[10:11], v[12:13]
	ds_read_b128 v[0:3], v28 offset:96
	ds_read_b128 v[4:7], v30 offset:3072
	v_add_f64 v[22:23], v[22:23], v[8:9]
	ds_read_b128 v[8:11], v30 offset:3584
	ds_read_b128 v[12:15], v28 offset:112
	v_add_f64 v[20:21], v[20:21], v[24:25]
	s_waitcnt lgkmcnt(2)
	v_mul_f64 v[24:25], v[6:7], v[2:3]
	v_mul_f64 v[2:3], v[4:5], v[2:3]
	v_fma_f64 v[24:25], v[4:5], v[0:1], -v[24:25]
	v_fmac_f64_e32 v[2:3], v[6:7], v[0:1]
	s_waitcnt lgkmcnt(0)
	v_mul_f64 v[0:1], v[10:11], v[14:15]
	v_add_f64 v[20:21], v[20:21], v[24:25]
	v_fma_f64 v[24:25], v[8:9], v[12:13], -v[0:1]
	v_mul_f64 v[8:9], v[8:9], v[14:15]
	v_add_f64 v[22:23], v[22:23], v[2:3]
	v_fmac_f64_e32 v[8:9], v[10:11], v[12:13]
	ds_read_b128 v[0:3], v28 offset:128
	ds_read_b128 v[4:7], v30 offset:4096
	v_add_f64 v[22:23], v[22:23], v[8:9]
	ds_read_b128 v[8:11], v30 offset:4608
	ds_read_b128 v[12:15], v28 offset:144
	v_add_f64 v[20:21], v[20:21], v[24:25]
	;; [unrolled: 18-line block ×8, first 2 shown]
	s_waitcnt lgkmcnt(2)
	v_mul_f64 v[24:25], v[6:7], v[2:3]
	v_mul_f64 v[2:3], v[4:5], v[2:3]
	v_fma_f64 v[24:25], v[4:5], v[0:1], -v[24:25]
	v_fmac_f64_e32 v[2:3], v[6:7], v[0:1]
	s_waitcnt lgkmcnt(0)
	v_mul_f64 v[0:1], v[10:11], v[14:15]
	v_add_f64 v[20:21], v[20:21], v[24:25]
	v_fma_f64 v[24:25], v[8:9], v[12:13], -v[0:1]
	v_mul_f64 v[8:9], v[8:9], v[14:15]
	v_add_f64 v[22:23], v[22:23], v[2:3]
	v_fmac_f64_e32 v[8:9], v[10:11], v[12:13]
	ds_read_b128 v[0:3], v28 offset:352
	ds_read_b128 v[4:7], v30 offset:11264
	v_add_f64 v[22:23], v[22:23], v[8:9]
	ds_read_b128 v[8:11], v30 offset:11776
	ds_read_b128 v[12:15], v28 offset:368
	global_load_dwordx4 v[36:39], v[18:19], off
	v_add_f64 v[20:21], v[20:21], v[24:25]
	s_waitcnt lgkmcnt(2)
	v_mul_f64 v[24:25], v[6:7], v[2:3]
	v_mul_f64 v[2:3], v[4:5], v[2:3]
	v_fma_f64 v[24:25], v[4:5], v[0:1], -v[24:25]
	v_fmac_f64_e32 v[2:3], v[6:7], v[0:1]
	s_waitcnt lgkmcnt(0)
	v_mul_f64 v[0:1], v[10:11], v[14:15]
	v_add_f64 v[20:21], v[20:21], v[24:25]
	v_fma_f64 v[24:25], v[8:9], v[12:13], -v[0:1]
	v_mul_f64 v[8:9], v[8:9], v[14:15]
	v_add_f64 v[22:23], v[22:23], v[2:3]
	v_fmac_f64_e32 v[8:9], v[10:11], v[12:13]
	ds_read_b128 v[0:3], v28 offset:384
	ds_read_b128 v[4:7], v30 offset:12288
	v_add_f64 v[22:23], v[22:23], v[8:9]
	ds_read_b128 v[8:11], v30 offset:12800
	ds_read_b128 v[12:15], v28 offset:400
	v_add_f64 v[20:21], v[20:21], v[24:25]
	s_waitcnt lgkmcnt(2)
	v_mul_f64 v[24:25], v[6:7], v[2:3]
	v_mul_f64 v[2:3], v[4:5], v[2:3]
	v_fma_f64 v[24:25], v[4:5], v[0:1], -v[24:25]
	v_fmac_f64_e32 v[2:3], v[6:7], v[0:1]
	s_waitcnt lgkmcnt(0)
	v_mul_f64 v[0:1], v[10:11], v[14:15]
	v_add_f64 v[20:21], v[20:21], v[24:25]
	v_fma_f64 v[24:25], v[8:9], v[12:13], -v[0:1]
	v_mul_f64 v[8:9], v[8:9], v[14:15]
	v_add_f64 v[22:23], v[22:23], v[2:3]
	v_fmac_f64_e32 v[8:9], v[10:11], v[12:13]
	ds_read_b128 v[0:3], v28 offset:416
	ds_read_b128 v[4:7], v30 offset:13312
	v_add_f64 v[22:23], v[22:23], v[8:9]
	ds_read_b128 v[8:11], v30 offset:13824
	ds_read_b128 v[12:15], v28 offset:432
	;; [unrolled: 18-line block ×4, first 2 shown]
	v_add_f64 v[20:21], v[20:21], v[24:25]
	s_waitcnt lgkmcnt(2)
	v_mul_f64 v[24:25], v[6:7], v[2:3]
	v_mul_f64 v[2:3], v[4:5], v[2:3]
	v_fma_f64 v[24:25], v[4:5], v[0:1], -v[24:25]
	v_fmac_f64_e32 v[2:3], v[6:7], v[0:1]
	s_waitcnt lgkmcnt(0)
	v_mul_f64 v[4:5], v[10:11], v[14:15]
	v_mul_f64 v[6:7], v[8:9], v[14:15]
	v_add_f64 v[0:1], v[20:21], v[24:25]
	v_add_f64 v[2:3], v[22:23], v[2:3]
	v_fma_f64 v[4:5], v[8:9], v[12:13], -v[4:5]
	v_fmac_f64_e32 v[6:7], v[10:11], v[12:13]
	v_add_f64 v[0:1], v[0:1], v[4:5]
	v_add_f64 v[2:3], v[2:3], v[6:7]
	v_mul_f64 v[4:5], s[22:23], v[2:3]
	v_mul_f64 v[6:7], s[22:23], v[0:1]
	v_fma_f64 v[4:5], s[20:21], v[0:1], -v[4:5]
	v_fmac_f64_e32 v[6:7], s[20:21], v[2:3]
	s_waitcnt vmcnt(0)
	v_add_f64 v[0:1], v[36:37], v[4:5]
	v_add_f64 v[2:3], v[38:39], v[6:7]
	global_store_dwordx4 v[18:19], v[0:3], off
	s_branch .LBB51_6
.LBB51_13:
	s_endpgm
	.section	.rodata,"a",@progbits
	.p2align	6, 0x0
	.amdhsa_kernel _ZL24rocblas_symm_hemm_kernelILb0ELb0ELi32EPK19rocblas_complex_numIdEPKS3_PKPS1_EvbiiT2_T3_lllSA_lllT4_llli
		.amdhsa_group_segment_fixed_size 32768
		.amdhsa_private_segment_fixed_size 0
		.amdhsa_kernarg_size 384
		.amdhsa_user_sgpr_count 6
		.amdhsa_user_sgpr_private_segment_buffer 1
		.amdhsa_user_sgpr_dispatch_ptr 0
		.amdhsa_user_sgpr_queue_ptr 0
		.amdhsa_user_sgpr_kernarg_segment_ptr 1
		.amdhsa_user_sgpr_dispatch_id 0
		.amdhsa_user_sgpr_flat_scratch_init 0
		.amdhsa_user_sgpr_kernarg_preload_length 0
		.amdhsa_user_sgpr_kernarg_preload_offset 0
		.amdhsa_user_sgpr_private_segment_size 0
		.amdhsa_uses_dynamic_stack 0
		.amdhsa_system_sgpr_private_segment_wavefront_offset 0
		.amdhsa_system_sgpr_workgroup_id_x 1
		.amdhsa_system_sgpr_workgroup_id_y 1
		.amdhsa_system_sgpr_workgroup_id_z 1
		.amdhsa_system_sgpr_workgroup_info 0
		.amdhsa_system_vgpr_workitem_id 1
		.amdhsa_next_free_vgpr 40
		.amdhsa_next_free_sgpr 40
		.amdhsa_accum_offset 40
		.amdhsa_reserve_vcc 1
		.amdhsa_reserve_flat_scratch 0
		.amdhsa_float_round_mode_32 0
		.amdhsa_float_round_mode_16_64 0
		.amdhsa_float_denorm_mode_32 3
		.amdhsa_float_denorm_mode_16_64 3
		.amdhsa_dx10_clamp 1
		.amdhsa_ieee_mode 1
		.amdhsa_fp16_overflow 0
		.amdhsa_tg_split 0
		.amdhsa_exception_fp_ieee_invalid_op 0
		.amdhsa_exception_fp_denorm_src 0
		.amdhsa_exception_fp_ieee_div_zero 0
		.amdhsa_exception_fp_ieee_overflow 0
		.amdhsa_exception_fp_ieee_underflow 0
		.amdhsa_exception_fp_ieee_inexact 0
		.amdhsa_exception_int_div_zero 0
	.end_amdhsa_kernel
	.section	.text._ZL24rocblas_symm_hemm_kernelILb0ELb0ELi32EPK19rocblas_complex_numIdEPKS3_PKPS1_EvbiiT2_T3_lllSA_lllT4_llli,"axG",@progbits,_ZL24rocblas_symm_hemm_kernelILb0ELb0ELi32EPK19rocblas_complex_numIdEPKS3_PKPS1_EvbiiT2_T3_lllSA_lllT4_llli,comdat
.Lfunc_end51:
	.size	_ZL24rocblas_symm_hemm_kernelILb0ELb0ELi32EPK19rocblas_complex_numIdEPKS3_PKPS1_EvbiiT2_T3_lllSA_lllT4_llli, .Lfunc_end51-_ZL24rocblas_symm_hemm_kernelILb0ELb0ELi32EPK19rocblas_complex_numIdEPKS3_PKPS1_EvbiiT2_T3_lllSA_lllT4_llli
                                        ; -- End function
	.section	.AMDGPU.csdata,"",@progbits
; Kernel info:
; codeLenInByte = 2964
; NumSgprs: 44
; NumVgprs: 40
; NumAgprs: 0
; TotalNumVgprs: 40
; ScratchSize: 0
; MemoryBound: 1
; FloatMode: 240
; IeeeMode: 1
; LDSByteSize: 32768 bytes/workgroup (compile time only)
; SGPRBlocks: 5
; VGPRBlocks: 4
; NumSGPRsForWavesPerEU: 44
; NumVGPRsForWavesPerEU: 40
; AccumOffset: 40
; Occupancy: 8
; WaveLimiterHint : 1
; COMPUTE_PGM_RSRC2:SCRATCH_EN: 0
; COMPUTE_PGM_RSRC2:USER_SGPR: 6
; COMPUTE_PGM_RSRC2:TRAP_HANDLER: 0
; COMPUTE_PGM_RSRC2:TGID_X_EN: 1
; COMPUTE_PGM_RSRC2:TGID_Y_EN: 1
; COMPUTE_PGM_RSRC2:TGID_Z_EN: 1
; COMPUTE_PGM_RSRC2:TIDIG_COMP_CNT: 1
; COMPUTE_PGM_RSRC3_GFX90A:ACCUM_OFFSET: 9
; COMPUTE_PGM_RSRC3_GFX90A:TG_SPLIT: 0
	.section	.text._ZL24rocblas_symm_hemm_kernelILb0ELb1ELi32EPK19rocblas_complex_numIdEPKS3_PKPS1_EvbiiT2_T3_lllSA_lllT4_llli,"axG",@progbits,_ZL24rocblas_symm_hemm_kernelILb0ELb1ELi32EPK19rocblas_complex_numIdEPKS3_PKPS1_EvbiiT2_T3_lllSA_lllT4_llli,comdat
	.globl	_ZL24rocblas_symm_hemm_kernelILb0ELb1ELi32EPK19rocblas_complex_numIdEPKS3_PKPS1_EvbiiT2_T3_lllSA_lllT4_llli ; -- Begin function _ZL24rocblas_symm_hemm_kernelILb0ELb1ELi32EPK19rocblas_complex_numIdEPKS3_PKPS1_EvbiiT2_T3_lllSA_lllT4_llli
	.p2align	8
	.type	_ZL24rocblas_symm_hemm_kernelILb0ELb1ELi32EPK19rocblas_complex_numIdEPKS3_PKPS1_EvbiiT2_T3_lllSA_lllT4_llli,@function
_ZL24rocblas_symm_hemm_kernelILb0ELb1ELi32EPK19rocblas_complex_numIdEPKS3_PKPS1_EvbiiT2_T3_lllSA_lllT4_llli: ; @_ZL24rocblas_symm_hemm_kernelILb0ELb1ELi32EPK19rocblas_complex_numIdEPKS3_PKPS1_EvbiiT2_T3_lllSA_lllT4_llli
; %bb.0:
	s_load_dwordx8 s[12:19], s[4:5], 0x10
	s_waitcnt lgkmcnt(0)
	s_load_dwordx4 s[20:23], s[12:13], 0x0
	s_waitcnt lgkmcnt(0)
	v_cmp_eq_f64_e64 s[0:1], s[20:21], 0
	v_cmp_eq_f64_e64 s[2:3], s[22:23], 0
	s_and_b64 s[0:1], s[0:1], s[2:3]
	s_and_b64 vcc, exec, s[0:1]
	s_cbranch_vccnz .LBB52_13
; %bb.1:
	s_load_dwordx4 s[24:27], s[4:5], 0x0
	s_waitcnt lgkmcnt(0)
	s_add_i32 s0, s26, -1
	s_ashr_i32 s1, s0, 31
	s_lshr_b32 s1, s1, 27
	s_add_i32 s0, s0, s1
	s_ashr_i32 s27, s0, 5
	s_cmp_gt_i32 s7, s27
	s_cbranch_scc1 .LBB52_13
; %bb.2:
	s_mov_b32 s9, 0
	s_lshl_b64 s[28:29], s[8:9], 3
	s_add_u32 s30, s14, s28
	s_addc_u32 s31, s15, s29
	s_load_dwordx2 s[34:35], s[30:31], 0x0
	s_load_dwordx4 s[0:3], s[4:5], 0x38
	s_load_dwordx2 s[8:9], s[4:5], 0x48
	s_load_dwordx4 s[12:15], s[4:5], 0x58
	s_load_dwordx2 s[10:11], s[4:5], 0x68
	s_lshl_b64 s[16:17], s[16:17], 4
	s_waitcnt lgkmcnt(0)
	s_add_u32 s16, s34, s16
	s_addc_u32 s17, s35, s17
	s_add_u32 s0, s0, s28
	s_addc_u32 s1, s1, s29
	;; [unrolled: 2-line block ×3, first 2 shown]
	s_load_dwordx2 s[28:29], s[12:13], 0x0
	s_load_dwordx2 s[30:31], s[0:1], 0x0
	s_bitcmp1_b32 s24, 0
	s_cselect_b64 s[0:1], -1, 0
	s_lshl_b64 s[12:13], s[14:15], 4
	s_waitcnt lgkmcnt(0)
	s_add_u32 s12, s28, s12
	v_and_b32_e32 v24, 0x3ff, v0
	s_addc_u32 s13, s29, s13
	s_lshl_b64 s[2:3], s[2:3], 4
	v_lshl_add_u32 v2, s6, 5, v24
	s_add_u32 s14, s30, s2
	v_ashrrev_i32_e32 v3, 31, v2
	s_addc_u32 s15, s31, s3
	v_bfe_u32 v25, v0, 10, 10
	v_lshlrev_b64 v[0:1], 4, v[2:3]
	s_load_dword s6, s[4:5], 0x84
	s_cmp_gt_i32 s26, 0
	v_cmp_gt_i32_e64 s[2:3], s25, v2
	v_mov_b32_e32 v2, s15
	v_add_co_u32_e32 v26, vcc, s14, v0
	v_addc_co_u32_e32 v27, vcc, v2, v1, vcc
	v_lshlrev_b32_e32 v2, 4, v25
	v_lshlrev_b32_e32 v28, 9, v24
	s_cselect_b64 s[4:5], -1, 0
	v_add_u32_e32 v29, v28, v2
	v_or_b32_e32 v30, 0x4000, v2
	v_mov_b32_e32 v2, s13
	v_add_co_u32_e32 v32, vcc, s12, v0
	v_cndmask_b32_e64 v0, 0, 1, s[4:5]
	v_add_u32_e32 v31, v30, v28
	v_addc_co_u32_e32 v33, vcc, v2, v1, vcc
	v_cmp_ne_u32_e64 s[4:5], 1, v0
	s_branch .LBB52_4
.LBB52_3:                               ;   in Loop: Header=BB52_4 Depth=1
	s_waitcnt lgkmcnt(0)
	s_add_i32 s7, s7, s6
	s_cmp_gt_i32 s7, s27
	s_cbranch_scc1 .LBB52_13
.LBB52_4:                               ; =>This Loop Header: Depth=1
                                        ;     Child Loop BB52_7 Depth 2
	s_and_b64 vcc, exec, s[4:5]
	s_cbranch_vccnz .LBB52_3
; %bb.5:                                ;   in Loop: Header=BB52_4 Depth=1
	v_lshl_add_u32 v34, s7, 5, v25
	v_ashrrev_i32_e32 v0, 31, v34
	v_mul_lo_u32 v2, v0, s10
	v_mul_lo_u32 v3, v34, s11
	v_mad_u64_u32 v[0:1], s[14:15], v34, s10, 0
	v_add3_u32 v1, v1, v3, v2
	v_cmp_gt_i32_e32 vcc, s26, v34
	v_lshlrev_b64 v[0:1], 4, v[0:1]
	s_and_b64 s[12:13], s[2:3], vcc
	v_add_co_u32_e32 v16, vcc, v32, v0
	v_addc_co_u32_e32 v17, vcc, v33, v1, vcc
	s_mov_b32 s24, 0
	s_branch .LBB52_7
.LBB52_6:                               ;   in Loop: Header=BB52_7 Depth=2
	s_or_b64 exec, exec, s[14:15]
	s_add_i32 s24, s24, 32
	s_cmp_ge_i32 s24, s26
	s_barrier
	s_cbranch_scc1 .LBB52_3
.LBB52_7:                               ;   Parent Loop BB52_4 Depth=1
                                        ; =>  This Inner Loop Header: Depth=2
	v_add_u32_e32 v6, s24, v25
	v_cmp_gt_i32_e32 vcc, s26, v6
	v_pk_mov_b32 v[0:1], 0, 0
	s_and_b64 s[28:29], s[2:3], vcc
	v_pk_mov_b32 v[2:3], v[0:1], v[0:1] op_sel:[0,1]
	v_pk_mov_b32 v[4:5], v[0:1], v[0:1] op_sel:[0,1]
	s_and_saveexec_b64 s[14:15], s[28:29]
	s_cbranch_execz .LBB52_9
; %bb.8:                                ;   in Loop: Header=BB52_7 Depth=2
	v_ashrrev_i32_e32 v2, 31, v6
	v_mul_lo_u32 v4, v6, s9
	v_mul_lo_u32 v5, v2, s8
	v_mad_u64_u32 v[2:3], s[28:29], v6, s8, 0
	v_add3_u32 v3, v3, v4, v5
	v_lshlrev_b64 v[2:3], 4, v[2:3]
	v_add_co_u32_e32 v2, vcc, v26, v2
	v_addc_co_u32_e32 v3, vcc, v27, v3, vcc
	global_load_dwordx4 v[2:5], v[2:3], off
.LBB52_9:                               ;   in Loop: Header=BB52_7 Depth=2
	s_or_b64 exec, exec, s[14:15]
	s_waitcnt vmcnt(0)
	ds_write_b128 v29, v[2:5]
	v_add_u32_e32 v2, s24, v24
	v_cndmask_b32_e64 v3, v34, v2, s[0:1]
	v_cndmask_b32_e64 v4, v2, v34, s[0:1]
	v_cmp_gt_i32_e32 vcc, v3, v4
	v_cndmask_b32_e32 v4, v2, v34, vcc
	v_cndmask_b32_e32 v5, v34, v2, vcc
	v_max_i32_e32 v2, v4, v5
	v_cmp_gt_i32_e32 vcc, s26, v2
	v_pk_mov_b32 v[2:3], v[0:1], v[0:1] op_sel:[0,1]
	s_and_saveexec_b64 s[14:15], vcc
	s_cbranch_execz .LBB52_11
; %bb.10:                               ;   in Loop: Header=BB52_7 Depth=2
	v_ashrrev_i32_e32 v0, 31, v5
	v_mul_lo_u32 v2, v5, s19
	v_mul_lo_u32 v3, v0, s18
	v_mad_u64_u32 v[0:1], s[28:29], v5, s18, 0
	v_add3_u32 v1, v1, v2, v3
	v_lshlrev_b64 v[0:1], 4, v[0:1]
	v_ashrrev_i32_e32 v5, 31, v4
	v_mov_b32_e32 v2, s17
	v_add_co_u32_e32 v3, vcc, s16, v0
	v_addc_co_u32_e32 v2, vcc, v2, v1, vcc
	v_lshlrev_b64 v[0:1], 4, v[4:5]
	v_add_co_u32_e32 v0, vcc, v3, v0
	v_addc_co_u32_e32 v1, vcc, v2, v1, vcc
	global_load_dwordx4 v[0:3], v[0:1], off
.LBB52_11:                              ;   in Loop: Header=BB52_7 Depth=2
	s_or_b64 exec, exec, s[14:15]
	s_waitcnt vmcnt(0)
	ds_write_b128 v31, v[0:3]
	s_waitcnt lgkmcnt(0)
	s_barrier
	s_and_saveexec_b64 s[14:15], s[12:13]
	s_cbranch_execz .LBB52_6
; %bb.12:                               ;   in Loop: Header=BB52_7 Depth=2
	ds_read_b128 v[0:3], v30
	ds_read_b128 v[4:7], v28
	ds_read_b128 v[8:11], v28 offset:16
	ds_read_b128 v[12:15], v28 offset:32
	;; [unrolled: 1-line block ×4, first 2 shown]
	s_waitcnt lgkmcnt(4)
	v_mul_f64 v[22:23], v[2:3], v[6:7]
	v_fma_f64 v[22:23], v[0:1], v[4:5], -v[22:23]
	v_mul_f64 v[0:1], v[0:1], v[6:7]
	v_fmac_f64_e32 v[0:1], v[2:3], v[4:5]
	v_add_f64 v[6:7], v[0:1], 0
	s_waitcnt lgkmcnt(0)
	v_mul_f64 v[0:1], v[38:39], v[10:11]
	v_add_f64 v[4:5], v[22:23], 0
	v_fma_f64 v[22:23], v[36:37], v[8:9], -v[0:1]
	ds_read_b128 v[0:3], v30 offset:1024
	v_mul_f64 v[10:11], v[36:37], v[10:11]
	v_fmac_f64_e32 v[10:11], v[38:39], v[8:9]
	v_add_f64 v[8:9], v[4:5], v[22:23]
	v_add_f64 v[10:11], v[6:7], v[10:11]
	ds_read_b128 v[4:7], v30 offset:1536
	s_waitcnt lgkmcnt(1)
	v_mul_f64 v[22:23], v[2:3], v[14:15]
	v_fma_f64 v[22:23], v[0:1], v[12:13], -v[22:23]
	v_mul_f64 v[0:1], v[0:1], v[14:15]
	v_fmac_f64_e32 v[0:1], v[2:3], v[12:13]
	v_add_f64 v[10:11], v[10:11], v[0:1]
	s_waitcnt lgkmcnt(0)
	v_mul_f64 v[0:1], v[6:7], v[20:21]
	v_mul_f64 v[14:15], v[4:5], v[20:21]
	v_add_f64 v[8:9], v[8:9], v[22:23]
	v_fma_f64 v[12:13], v[4:5], v[18:19], -v[0:1]
	v_fmac_f64_e32 v[14:15], v[6:7], v[18:19]
	ds_read_b128 v[0:3], v28 offset:64
	ds_read_b128 v[4:7], v30 offset:2048
	v_add_f64 v[18:19], v[8:9], v[12:13]
	v_add_f64 v[20:21], v[10:11], v[14:15]
	ds_read_b128 v[8:11], v30 offset:2560
	ds_read_b128 v[12:15], v28 offset:80
	s_waitcnt lgkmcnt(2)
	v_mul_f64 v[22:23], v[6:7], v[2:3]
	v_mul_f64 v[2:3], v[4:5], v[2:3]
	v_fma_f64 v[22:23], v[4:5], v[0:1], -v[22:23]
	v_fmac_f64_e32 v[2:3], v[6:7], v[0:1]
	s_waitcnt lgkmcnt(0)
	v_mul_f64 v[0:1], v[10:11], v[14:15]
	v_add_f64 v[18:19], v[18:19], v[22:23]
	v_fma_f64 v[22:23], v[8:9], v[12:13], -v[0:1]
	v_mul_f64 v[8:9], v[8:9], v[14:15]
	v_add_f64 v[20:21], v[20:21], v[2:3]
	v_fmac_f64_e32 v[8:9], v[10:11], v[12:13]
	ds_read_b128 v[0:3], v28 offset:96
	ds_read_b128 v[4:7], v30 offset:3072
	v_add_f64 v[20:21], v[20:21], v[8:9]
	ds_read_b128 v[8:11], v30 offset:3584
	ds_read_b128 v[12:15], v28 offset:112
	v_add_f64 v[18:19], v[18:19], v[22:23]
	s_waitcnt lgkmcnt(2)
	v_mul_f64 v[22:23], v[6:7], v[2:3]
	v_mul_f64 v[2:3], v[4:5], v[2:3]
	v_fma_f64 v[22:23], v[4:5], v[0:1], -v[22:23]
	v_fmac_f64_e32 v[2:3], v[6:7], v[0:1]
	s_waitcnt lgkmcnt(0)
	v_mul_f64 v[0:1], v[10:11], v[14:15]
	v_add_f64 v[18:19], v[18:19], v[22:23]
	v_fma_f64 v[22:23], v[8:9], v[12:13], -v[0:1]
	v_mul_f64 v[8:9], v[8:9], v[14:15]
	v_add_f64 v[20:21], v[20:21], v[2:3]
	v_fmac_f64_e32 v[8:9], v[10:11], v[12:13]
	ds_read_b128 v[0:3], v28 offset:128
	ds_read_b128 v[4:7], v30 offset:4096
	v_add_f64 v[20:21], v[20:21], v[8:9]
	ds_read_b128 v[8:11], v30 offset:4608
	ds_read_b128 v[12:15], v28 offset:144
	v_add_f64 v[18:19], v[18:19], v[22:23]
	;; [unrolled: 18-line block ×8, first 2 shown]
	s_waitcnt lgkmcnt(2)
	v_mul_f64 v[22:23], v[6:7], v[2:3]
	v_mul_f64 v[2:3], v[4:5], v[2:3]
	v_fma_f64 v[22:23], v[4:5], v[0:1], -v[22:23]
	v_fmac_f64_e32 v[2:3], v[6:7], v[0:1]
	s_waitcnt lgkmcnt(0)
	v_mul_f64 v[0:1], v[10:11], v[14:15]
	v_add_f64 v[18:19], v[18:19], v[22:23]
	v_fma_f64 v[22:23], v[8:9], v[12:13], -v[0:1]
	v_mul_f64 v[8:9], v[8:9], v[14:15]
	v_add_f64 v[20:21], v[20:21], v[2:3]
	v_fmac_f64_e32 v[8:9], v[10:11], v[12:13]
	ds_read_b128 v[0:3], v28 offset:352
	ds_read_b128 v[4:7], v30 offset:11264
	v_add_f64 v[20:21], v[20:21], v[8:9]
	ds_read_b128 v[8:11], v30 offset:11776
	ds_read_b128 v[12:15], v28 offset:368
	global_load_dwordx4 v[36:39], v[16:17], off
	v_add_f64 v[18:19], v[18:19], v[22:23]
	s_waitcnt lgkmcnt(2)
	v_mul_f64 v[22:23], v[6:7], v[2:3]
	v_mul_f64 v[2:3], v[4:5], v[2:3]
	v_fma_f64 v[22:23], v[4:5], v[0:1], -v[22:23]
	v_fmac_f64_e32 v[2:3], v[6:7], v[0:1]
	s_waitcnt lgkmcnt(0)
	v_mul_f64 v[0:1], v[10:11], v[14:15]
	v_add_f64 v[18:19], v[18:19], v[22:23]
	v_fma_f64 v[22:23], v[8:9], v[12:13], -v[0:1]
	v_mul_f64 v[8:9], v[8:9], v[14:15]
	v_add_f64 v[20:21], v[20:21], v[2:3]
	v_fmac_f64_e32 v[8:9], v[10:11], v[12:13]
	ds_read_b128 v[0:3], v28 offset:384
	ds_read_b128 v[4:7], v30 offset:12288
	v_add_f64 v[20:21], v[20:21], v[8:9]
	ds_read_b128 v[8:11], v30 offset:12800
	ds_read_b128 v[12:15], v28 offset:400
	v_add_f64 v[18:19], v[18:19], v[22:23]
	s_waitcnt lgkmcnt(2)
	v_mul_f64 v[22:23], v[6:7], v[2:3]
	v_mul_f64 v[2:3], v[4:5], v[2:3]
	v_fma_f64 v[22:23], v[4:5], v[0:1], -v[22:23]
	v_fmac_f64_e32 v[2:3], v[6:7], v[0:1]
	s_waitcnt lgkmcnt(0)
	v_mul_f64 v[0:1], v[10:11], v[14:15]
	v_add_f64 v[18:19], v[18:19], v[22:23]
	v_fma_f64 v[22:23], v[8:9], v[12:13], -v[0:1]
	v_mul_f64 v[8:9], v[8:9], v[14:15]
	v_add_f64 v[20:21], v[20:21], v[2:3]
	v_fmac_f64_e32 v[8:9], v[10:11], v[12:13]
	ds_read_b128 v[0:3], v28 offset:416
	ds_read_b128 v[4:7], v30 offset:13312
	v_add_f64 v[20:21], v[20:21], v[8:9]
	ds_read_b128 v[8:11], v30 offset:13824
	ds_read_b128 v[12:15], v28 offset:432
	;; [unrolled: 18-line block ×4, first 2 shown]
	v_add_f64 v[18:19], v[18:19], v[22:23]
	s_waitcnt lgkmcnt(2)
	v_mul_f64 v[22:23], v[6:7], v[2:3]
	v_mul_f64 v[2:3], v[4:5], v[2:3]
	v_fma_f64 v[22:23], v[4:5], v[0:1], -v[22:23]
	v_fmac_f64_e32 v[2:3], v[6:7], v[0:1]
	s_waitcnt lgkmcnt(0)
	v_mul_f64 v[4:5], v[10:11], v[14:15]
	v_mul_f64 v[6:7], v[8:9], v[14:15]
	v_add_f64 v[0:1], v[18:19], v[22:23]
	v_add_f64 v[2:3], v[20:21], v[2:3]
	v_fma_f64 v[4:5], v[8:9], v[12:13], -v[4:5]
	v_fmac_f64_e32 v[6:7], v[10:11], v[12:13]
	v_add_f64 v[0:1], v[0:1], v[4:5]
	v_add_f64 v[2:3], v[2:3], v[6:7]
	v_mul_f64 v[4:5], s[22:23], v[2:3]
	v_mul_f64 v[6:7], s[22:23], v[0:1]
	v_fma_f64 v[4:5], s[20:21], v[0:1], -v[4:5]
	v_fmac_f64_e32 v[6:7], s[20:21], v[2:3]
	s_waitcnt vmcnt(0)
	v_add_f64 v[0:1], v[36:37], v[4:5]
	v_add_f64 v[2:3], v[38:39], v[6:7]
	global_store_dwordx4 v[16:17], v[0:3], off
	s_branch .LBB52_6
.LBB52_13:
	s_endpgm
	.section	.rodata,"a",@progbits
	.p2align	6, 0x0
	.amdhsa_kernel _ZL24rocblas_symm_hemm_kernelILb0ELb1ELi32EPK19rocblas_complex_numIdEPKS3_PKPS1_EvbiiT2_T3_lllSA_lllT4_llli
		.amdhsa_group_segment_fixed_size 32768
		.amdhsa_private_segment_fixed_size 0
		.amdhsa_kernarg_size 384
		.amdhsa_user_sgpr_count 6
		.amdhsa_user_sgpr_private_segment_buffer 1
		.amdhsa_user_sgpr_dispatch_ptr 0
		.amdhsa_user_sgpr_queue_ptr 0
		.amdhsa_user_sgpr_kernarg_segment_ptr 1
		.amdhsa_user_sgpr_dispatch_id 0
		.amdhsa_user_sgpr_flat_scratch_init 0
		.amdhsa_user_sgpr_kernarg_preload_length 0
		.amdhsa_user_sgpr_kernarg_preload_offset 0
		.amdhsa_user_sgpr_private_segment_size 0
		.amdhsa_uses_dynamic_stack 0
		.amdhsa_system_sgpr_private_segment_wavefront_offset 0
		.amdhsa_system_sgpr_workgroup_id_x 1
		.amdhsa_system_sgpr_workgroup_id_y 1
		.amdhsa_system_sgpr_workgroup_id_z 1
		.amdhsa_system_sgpr_workgroup_info 0
		.amdhsa_system_vgpr_workitem_id 1
		.amdhsa_next_free_vgpr 40
		.amdhsa_next_free_sgpr 36
		.amdhsa_accum_offset 40
		.amdhsa_reserve_vcc 1
		.amdhsa_reserve_flat_scratch 0
		.amdhsa_float_round_mode_32 0
		.amdhsa_float_round_mode_16_64 0
		.amdhsa_float_denorm_mode_32 3
		.amdhsa_float_denorm_mode_16_64 3
		.amdhsa_dx10_clamp 1
		.amdhsa_ieee_mode 1
		.amdhsa_fp16_overflow 0
		.amdhsa_tg_split 0
		.amdhsa_exception_fp_ieee_invalid_op 0
		.amdhsa_exception_fp_denorm_src 0
		.amdhsa_exception_fp_ieee_div_zero 0
		.amdhsa_exception_fp_ieee_overflow 0
		.amdhsa_exception_fp_ieee_underflow 0
		.amdhsa_exception_fp_ieee_inexact 0
		.amdhsa_exception_int_div_zero 0
	.end_amdhsa_kernel
	.section	.text._ZL24rocblas_symm_hemm_kernelILb0ELb1ELi32EPK19rocblas_complex_numIdEPKS3_PKPS1_EvbiiT2_T3_lllSA_lllT4_llli,"axG",@progbits,_ZL24rocblas_symm_hemm_kernelILb0ELb1ELi32EPK19rocblas_complex_numIdEPKS3_PKPS1_EvbiiT2_T3_lllSA_lllT4_llli,comdat
.Lfunc_end52:
	.size	_ZL24rocblas_symm_hemm_kernelILb0ELb1ELi32EPK19rocblas_complex_numIdEPKS3_PKPS1_EvbiiT2_T3_lllSA_lllT4_llli, .Lfunc_end52-_ZL24rocblas_symm_hemm_kernelILb0ELb1ELi32EPK19rocblas_complex_numIdEPKS3_PKPS1_EvbiiT2_T3_lllSA_lllT4_llli
                                        ; -- End function
	.section	.AMDGPU.csdata,"",@progbits
; Kernel info:
; codeLenInByte = 2892
; NumSgprs: 40
; NumVgprs: 40
; NumAgprs: 0
; TotalNumVgprs: 40
; ScratchSize: 0
; MemoryBound: 1
; FloatMode: 240
; IeeeMode: 1
; LDSByteSize: 32768 bytes/workgroup (compile time only)
; SGPRBlocks: 4
; VGPRBlocks: 4
; NumSGPRsForWavesPerEU: 40
; NumVGPRsForWavesPerEU: 40
; AccumOffset: 40
; Occupancy: 8
; WaveLimiterHint : 1
; COMPUTE_PGM_RSRC2:SCRATCH_EN: 0
; COMPUTE_PGM_RSRC2:USER_SGPR: 6
; COMPUTE_PGM_RSRC2:TRAP_HANDLER: 0
; COMPUTE_PGM_RSRC2:TGID_X_EN: 1
; COMPUTE_PGM_RSRC2:TGID_Y_EN: 1
; COMPUTE_PGM_RSRC2:TGID_Z_EN: 1
; COMPUTE_PGM_RSRC2:TIDIG_COMP_CNT: 1
; COMPUTE_PGM_RSRC3_GFX90A:ACCUM_OFFSET: 9
; COMPUTE_PGM_RSRC3_GFX90A:TG_SPLIT: 0
	.section	.text._ZL25rocblas_symm_scale_kernelILi128ELi8E19rocblas_complex_numIdEPKPS1_EviiT1_T2_llli,"axG",@progbits,_ZL25rocblas_symm_scale_kernelILi128ELi8E19rocblas_complex_numIdEPKPS1_EviiT1_T2_llli,comdat
	.globl	_ZL25rocblas_symm_scale_kernelILi128ELi8E19rocblas_complex_numIdEPKPS1_EviiT1_T2_llli ; -- Begin function _ZL25rocblas_symm_scale_kernelILi128ELi8E19rocblas_complex_numIdEPKPS1_EviiT1_T2_llli
	.p2align	8
	.type	_ZL25rocblas_symm_scale_kernelILi128ELi8E19rocblas_complex_numIdEPKPS1_EviiT1_T2_llli,@function
_ZL25rocblas_symm_scale_kernelILi128ELi8E19rocblas_complex_numIdEPKPS1_EviiT1_T2_llli: ; @_ZL25rocblas_symm_scale_kernelILi128ELi8E19rocblas_complex_numIdEPKPS1_EviiT1_T2_llli
; %bb.0:
	s_load_dwordx8 s[12:19], s[4:5], 0x8
	s_waitcnt lgkmcnt(0)
	v_cmp_eq_f64_e64 s[0:1], s[12:13], 1.0
	v_cmp_eq_f64_e64 s[2:3], s[14:15], 0
	s_and_b64 s[0:1], s[0:1], s[2:3]
	s_and_b64 vcc, exec, s[0:1]
	s_cbranch_vccnz .LBB53_6
; %bb.1:
	s_load_dwordx2 s[0:1], s[4:5], 0x0
	v_and_b32_e32 v1, 0x3ff, v0
	v_bfe_u32 v0, v0, 10, 10
	v_lshl_add_u32 v2, s6, 7, v1
	v_lshl_add_u32 v4, s7, 3, v0
	v_mov_b32_e32 v5, 0
	s_waitcnt lgkmcnt(0)
	s_ashr_i32 s3, s1, 31
	s_mov_b32 s2, s1
	v_cmp_gt_u32_e32 vcc, s0, v2
	v_cmp_gt_i64_e64 s[0:1], s[2:3], v[4:5]
	s_and_b64 s[0:1], vcc, s[0:1]
	s_and_saveexec_b64 s[6:7], s[0:1]
	s_cbranch_execz .LBB53_6
; %bb.2:
	s_mov_b32 s9, 0
	s_lshl_b64 s[0:1], s[8:9], 3
	s_add_u32 s0, s16, s0
	s_addc_u32 s1, s17, s1
	s_load_dwordx2 s[6:7], s[0:1], 0x0
	s_load_dwordx2 s[10:11], s[4:5], 0x28
	s_load_dword s8, s[4:5], 0x44
	s_lshl_b64 s[18:19], s[18:19], 4
	v_mov_b32_e32 v3, v5
	v_cmp_neq_f64_e64 s[0:1], s[12:13], 0
	s_waitcnt lgkmcnt(0)
	v_mad_u64_u32 v[0:1], s[20:21], s10, v4, 0
	v_mov_b32_e32 v6, v1
	v_mad_u64_u32 v[6:7], s[20:21], s11, v4, v[6:7]
	v_mov_b32_e32 v1, v6
	v_lshlrev_b64 v[0:1], 4, v[0:1]
	v_mov_b32_e32 v6, s19
	v_add_co_u32_e32 v7, vcc, s18, v0
	v_addc_co_u32_e32 v6, vcc, v1, v6, vcc
	v_lshlrev_b64 v[0:1], 4, v[2:3]
	v_add_co_u32_e32 v0, vcc, v7, v0
	s_lshl_b32 s8, s8, 3
	v_addc_co_u32_e32 v1, vcc, v6, v1, vcc
	v_cmp_neq_f64_e64 s[16:17], s[14:15], 0
	v_mov_b32_e32 v2, s7
	v_add_co_u32_e32 v0, vcc, s6, v0
	s_mul_i32 s6, s11, s8
	s_mul_hi_u32 s7, s10, s8
	v_addc_co_u32_e32 v1, vcc, v1, v2, vcc
	s_add_i32 s7, s7, s6
	s_mul_i32 s6, s10, s8
	s_or_b64 s[0:1], s[0:1], s[16:17]
	v_add_co_u32_e32 v6, vcc, 8, v0
	s_lshl_b64 s[6:7], s[6:7], 4
	v_cndmask_b32_e64 v0, 0, 1, s[0:1]
	s_mov_b64 s[4:5], 0
	v_addc_co_u32_e32 v7, vcc, 0, v1, vcc
	v_cmp_ne_u32_e64 s[0:1], 1, v0
	v_mov_b32_e32 v8, s9
	v_mov_b32_e32 v9, s7
	s_branch .LBB53_4
.LBB53_3:                               ;   in Loop: Header=BB53_4 Depth=1
	v_add_co_u32_e32 v4, vcc, s8, v4
	v_addc_co_u32_e32 v5, vcc, v5, v8, vcc
	v_cmp_le_i64_e32 vcc, s[2:3], v[4:5]
	global_store_dwordx4 v[6:7], v[0:3], off offset:-8
	s_or_b64 s[4:5], vcc, s[4:5]
	v_add_co_u32_e32 v6, vcc, s6, v6
	v_addc_co_u32_e32 v7, vcc, v7, v9, vcc
	s_andn2_b64 exec, exec, s[4:5]
	s_cbranch_execz .LBB53_6
.LBB53_4:                               ; =>This Inner Loop Header: Depth=1
	v_pk_mov_b32 v[2:3], 0, 0
	s_and_b64 vcc, exec, s[0:1]
	v_pk_mov_b32 v[0:1], v[2:3], v[2:3] op_sel:[0,1]
	s_cbranch_vccnz .LBB53_3
; %bb.5:                                ;   in Loop: Header=BB53_4 Depth=1
	global_load_dwordx4 v[10:13], v[6:7], off offset:-8
	s_waitcnt vmcnt(0)
	v_mul_f64 v[0:1], s[14:15], v[12:13]
	v_mul_f64 v[2:3], s[12:13], v[12:13]
	v_fma_f64 v[0:1], s[12:13], v[10:11], -v[0:1]
	v_fmac_f64_e32 v[2:3], s[14:15], v[10:11]
	s_branch .LBB53_3
.LBB53_6:
	s_endpgm
	.section	.rodata,"a",@progbits
	.p2align	6, 0x0
	.amdhsa_kernel _ZL25rocblas_symm_scale_kernelILi128ELi8E19rocblas_complex_numIdEPKPS1_EviiT1_T2_llli
		.amdhsa_group_segment_fixed_size 0
		.amdhsa_private_segment_fixed_size 0
		.amdhsa_kernarg_size 320
		.amdhsa_user_sgpr_count 6
		.amdhsa_user_sgpr_private_segment_buffer 1
		.amdhsa_user_sgpr_dispatch_ptr 0
		.amdhsa_user_sgpr_queue_ptr 0
		.amdhsa_user_sgpr_kernarg_segment_ptr 1
		.amdhsa_user_sgpr_dispatch_id 0
		.amdhsa_user_sgpr_flat_scratch_init 0
		.amdhsa_user_sgpr_kernarg_preload_length 0
		.amdhsa_user_sgpr_kernarg_preload_offset 0
		.amdhsa_user_sgpr_private_segment_size 0
		.amdhsa_uses_dynamic_stack 0
		.amdhsa_system_sgpr_private_segment_wavefront_offset 0
		.amdhsa_system_sgpr_workgroup_id_x 1
		.amdhsa_system_sgpr_workgroup_id_y 1
		.amdhsa_system_sgpr_workgroup_id_z 1
		.amdhsa_system_sgpr_workgroup_info 0
		.amdhsa_system_vgpr_workitem_id 1
		.amdhsa_next_free_vgpr 14
		.amdhsa_next_free_sgpr 22
		.amdhsa_accum_offset 16
		.amdhsa_reserve_vcc 1
		.amdhsa_reserve_flat_scratch 0
		.amdhsa_float_round_mode_32 0
		.amdhsa_float_round_mode_16_64 0
		.amdhsa_float_denorm_mode_32 3
		.amdhsa_float_denorm_mode_16_64 3
		.amdhsa_dx10_clamp 1
		.amdhsa_ieee_mode 1
		.amdhsa_fp16_overflow 0
		.amdhsa_tg_split 0
		.amdhsa_exception_fp_ieee_invalid_op 0
		.amdhsa_exception_fp_denorm_src 0
		.amdhsa_exception_fp_ieee_div_zero 0
		.amdhsa_exception_fp_ieee_overflow 0
		.amdhsa_exception_fp_ieee_underflow 0
		.amdhsa_exception_fp_ieee_inexact 0
		.amdhsa_exception_int_div_zero 0
	.end_amdhsa_kernel
	.section	.text._ZL25rocblas_symm_scale_kernelILi128ELi8E19rocblas_complex_numIdEPKPS1_EviiT1_T2_llli,"axG",@progbits,_ZL25rocblas_symm_scale_kernelILi128ELi8E19rocblas_complex_numIdEPKPS1_EviiT1_T2_llli,comdat
.Lfunc_end53:
	.size	_ZL25rocblas_symm_scale_kernelILi128ELi8E19rocblas_complex_numIdEPKPS1_EviiT1_T2_llli, .Lfunc_end53-_ZL25rocblas_symm_scale_kernelILi128ELi8E19rocblas_complex_numIdEPKPS1_EviiT1_T2_llli
                                        ; -- End function
	.section	.AMDGPU.csdata,"",@progbits
; Kernel info:
; codeLenInByte = 440
; NumSgprs: 26
; NumVgprs: 14
; NumAgprs: 0
; TotalNumVgprs: 14
; ScratchSize: 0
; MemoryBound: 0
; FloatMode: 240
; IeeeMode: 1
; LDSByteSize: 0 bytes/workgroup (compile time only)
; SGPRBlocks: 3
; VGPRBlocks: 1
; NumSGPRsForWavesPerEU: 26
; NumVGPRsForWavesPerEU: 14
; AccumOffset: 16
; Occupancy: 8
; WaveLimiterHint : 0
; COMPUTE_PGM_RSRC2:SCRATCH_EN: 0
; COMPUTE_PGM_RSRC2:USER_SGPR: 6
; COMPUTE_PGM_RSRC2:TRAP_HANDLER: 0
; COMPUTE_PGM_RSRC2:TGID_X_EN: 1
; COMPUTE_PGM_RSRC2:TGID_Y_EN: 1
; COMPUTE_PGM_RSRC2:TGID_Z_EN: 1
; COMPUTE_PGM_RSRC2:TIDIG_COMP_CNT: 1
; COMPUTE_PGM_RSRC3_GFX90A:ACCUM_OFFSET: 3
; COMPUTE_PGM_RSRC3_GFX90A:TG_SPLIT: 0
	.section	.text._ZL24rocblas_symm_hemm_kernelILb0ELb0ELi32E19rocblas_complex_numIdEPKPKS1_PKPS1_EvbiiT2_T3_lllSA_lllT4_llli,"axG",@progbits,_ZL24rocblas_symm_hemm_kernelILb0ELb0ELi32E19rocblas_complex_numIdEPKPKS1_PKPS1_EvbiiT2_T3_lllSA_lllT4_llli,comdat
	.globl	_ZL24rocblas_symm_hemm_kernelILb0ELb0ELi32E19rocblas_complex_numIdEPKPKS1_PKPS1_EvbiiT2_T3_lllSA_lllT4_llli ; -- Begin function _ZL24rocblas_symm_hemm_kernelILb0ELb0ELi32E19rocblas_complex_numIdEPKPKS1_PKPS1_EvbiiT2_T3_lllSA_lllT4_llli
	.p2align	8
	.type	_ZL24rocblas_symm_hemm_kernelILb0ELb0ELi32E19rocblas_complex_numIdEPKPKS1_PKPS1_EvbiiT2_T3_lllSA_lllT4_llli,@function
_ZL24rocblas_symm_hemm_kernelILb0ELb0ELi32E19rocblas_complex_numIdEPKPKS1_PKPS1_EvbiiT2_T3_lllSA_lllT4_llli: ; @_ZL24rocblas_symm_hemm_kernelILb0ELb0ELi32E19rocblas_complex_numIdEPKPKS1_PKPS1_EvbiiT2_T3_lllSA_lllT4_llli
; %bb.0:
	s_load_dwordx8 s[12:19], s[4:5], 0x10
	s_waitcnt lgkmcnt(0)
	v_cmp_eq_f64_e64 s[0:1], s[12:13], 0
	v_cmp_eq_f64_e64 s[2:3], s[14:15], 0
	s_and_b64 s[0:1], s[0:1], s[2:3]
	s_and_b64 vcc, exec, s[0:1]
	s_cbranch_vccnz .LBB54_13
; %bb.1:
	s_load_dwordx4 s[20:23], s[4:5], 0x0
	s_waitcnt lgkmcnt(0)
	s_add_i32 s0, s22, -1
	s_ashr_i32 s1, s0, 31
	s_lshr_b32 s1, s1, 27
	s_add_i32 s0, s0, s1
	s_ashr_i32 s23, s0, 5
	s_cmp_gt_i32 s7, s23
	s_cbranch_scc1 .LBB54_13
; %bb.2:
	s_mov_b32 s9, 0
	s_lshl_b64 s[8:9], s[8:9], 3
	s_add_u32 s16, s16, s8
	s_addc_u32 s17, s17, s9
	s_load_dwordx2 s[24:25], s[16:17], 0x0
	s_load_dwordx4 s[0:3], s[4:5], 0x40
	s_load_dwordx2 s[10:11], s[4:5], 0x30
	s_lshl_b64 s[16:17], s[18:19], 4
	v_and_b32_e32 v26, 0x3ff, v0
	s_waitcnt lgkmcnt(0)
	s_add_u32 s28, s24, s16
	s_addc_u32 s29, s25, s17
	s_add_u32 s0, s0, s8
	s_addc_u32 s1, s1, s9
	s_load_dwordx2 s[18:19], s[0:1], 0x0
	s_load_dwordx2 s[16:17], s[4:5], 0x50
	s_load_dwordx4 s[24:27], s[4:5], 0x60
	s_lshl_b64 s[0:1], s[2:3], 4
	v_lshl_add_u32 v16, s6, 5, v26
	s_waitcnt lgkmcnt(0)
	s_add_u32 s30, s18, s0
	s_addc_u32 s31, s19, s1
	s_add_u32 s0, s24, s8
	s_addc_u32 s1, s25, s9
	s_load_dwordx2 s[2:3], s[0:1], 0x0
	s_bitcmp1_b32 s20, 0
	s_cselect_b64 s[0:1], -1, 0
	s_lshl_b64 s[8:9], s[26:27], 4
	v_bfe_u32 v27, v0, 10, 10
	s_waitcnt lgkmcnt(0)
	s_add_u32 s8, s2, s8
	s_addc_u32 s6, s3, s9
	v_mov_b32_e32 v2, s6
	s_load_dwordx2 s[18:19], s[4:5], 0x70
	s_load_dword s6, s[4:5], 0x8c
	s_cmp_gt_i32 s21, 0
	v_lshlrev_b32_e32 v0, 4, v27
	v_lshlrev_b32_e32 v28, 9, v26
	v_ashrrev_i32_e32 v17, 31, v16
	v_add_u32_e32 v29, v28, v0
	v_or_b32_e32 v30, 0x4000, v0
	v_lshlrev_b64 v[0:1], 4, v[16:17]
	s_cselect_b64 s[4:5], -1, 0
	v_add_co_u32_e32 v17, vcc, s8, v0
	v_cndmask_b32_e64 v0, 0, 1, s[4:5]
	v_add_u32_e32 v31, v30, v28
	v_cmp_gt_i32_e64 s[2:3], s21, v16
	v_addc_co_u32_e32 v32, vcc, v2, v1, vcc
	v_cmp_ne_u32_e64 s[4:5], 1, v0
	s_branch .LBB54_4
.LBB54_3:                               ;   in Loop: Header=BB54_4 Depth=1
	s_waitcnt lgkmcnt(0)
	s_add_i32 s7, s7, s6
	s_cmp_gt_i32 s7, s23
	s_cbranch_scc1 .LBB54_13
.LBB54_4:                               ; =>This Loop Header: Depth=1
                                        ;     Child Loop BB54_7 Depth 2
	s_and_b64 vcc, exec, s[4:5]
	s_cbranch_vccnz .LBB54_3
; %bb.5:                                ;   in Loop: Header=BB54_4 Depth=1
	v_lshl_add_u32 v2, s7, 5, v27
	v_ashrrev_i32_e32 v3, 31, v2
	v_mul_lo_u32 v4, v3, s16
	v_mul_lo_u32 v5, v2, s17
	v_mad_u64_u32 v[0:1], s[8:9], v2, s16, 0
	v_add3_u32 v1, v1, v5, v4
	v_lshlrev_b64 v[0:1], 4, v[0:1]
	v_mov_b32_e32 v4, s31
	v_add_co_u32_e64 v33, s[8:9], s30, v0
	v_addc_co_u32_e64 v34, s[8:9], v4, v1, s[8:9]
	s_waitcnt lgkmcnt(0)
	v_mul_lo_u32 v3, v3, s18
	v_mul_lo_u32 v4, v2, s19
	v_mad_u64_u32 v[0:1], s[8:9], v2, s18, 0
	v_add3_u32 v1, v1, v4, v3
	v_lshlrev_b64 v[0:1], 4, v[0:1]
	v_cmp_gt_i32_e32 vcc, s22, v2
	v_add_co_u32_e64 v18, s[8:9], v17, v0
	s_and_b64 s[24:25], s[2:3], vcc
	v_addc_co_u32_e64 v19, s[8:9], v32, v1, s[8:9]
	s_mov_b32 s20, 0
	s_branch .LBB54_7
.LBB54_6:                               ;   in Loop: Header=BB54_7 Depth=2
	s_or_b64 exec, exec, s[8:9]
	s_add_i32 s20, s20, 32
	s_cmp_ge_i32 s20, s21
	s_barrier
	s_cbranch_scc1 .LBB54_3
.LBB54_7:                               ;   Parent Loop BB54_4 Depth=1
                                        ; =>  This Inner Loop Header: Depth=2
	v_add_u32_e32 v0, s20, v27
	v_cndmask_b32_e64 v1, v0, v16, s[0:1]
	v_cndmask_b32_e64 v2, v16, v0, s[0:1]
	v_cmp_gt_i32_e64 s[8:9], v1, v2
	v_cndmask_b32_e64 v6, v16, v0, s[8:9]
	v_cndmask_b32_e64 v7, v0, v16, s[8:9]
	v_max_i32_e32 v0, v6, v7
	v_cmp_gt_i32_e64 s[8:9], s21, v0
	v_pk_mov_b32 v[0:1], 0, 0
	v_pk_mov_b32 v[2:3], v[0:1], v[0:1] op_sel:[0,1]
	v_pk_mov_b32 v[4:5], v[0:1], v[0:1] op_sel:[0,1]
	s_and_saveexec_b64 s[26:27], s[8:9]
	s_cbranch_execz .LBB54_9
; %bb.8:                                ;   in Loop: Header=BB54_7 Depth=2
	v_ashrrev_i32_e32 v2, 31, v7
	v_mul_lo_u32 v4, v7, s11
	v_mul_lo_u32 v5, v2, s10
	v_mad_u64_u32 v[2:3], s[8:9], v7, s10, 0
	v_add3_u32 v3, v3, v4, v5
	v_lshlrev_b64 v[2:3], 4, v[2:3]
	v_ashrrev_i32_e32 v7, 31, v6
	v_mov_b32_e32 v4, s29
	v_add_co_u32_e64 v5, s[8:9], s28, v2
	v_addc_co_u32_e64 v4, s[8:9], v4, v3, s[8:9]
	v_lshlrev_b64 v[2:3], 4, v[6:7]
	v_add_co_u32_e64 v2, s[8:9], v5, v2
	v_addc_co_u32_e64 v3, s[8:9], v4, v3, s[8:9]
	global_load_dwordx4 v[2:5], v[2:3], off
.LBB54_9:                               ;   in Loop: Header=BB54_7 Depth=2
	s_or_b64 exec, exec, s[26:27]
	s_waitcnt vmcnt(0)
	ds_write_b128 v29, v[2:5]
	v_add_u32_e32 v4, s20, v26
	v_cmp_gt_i32_e64 s[8:9], s21, v4
	s_and_b64 s[8:9], s[8:9], vcc
	v_pk_mov_b32 v[2:3], v[0:1], v[0:1] op_sel:[0,1]
	s_and_saveexec_b64 s[26:27], s[8:9]
	s_cbranch_execz .LBB54_11
; %bb.10:                               ;   in Loop: Header=BB54_7 Depth=2
	v_ashrrev_i32_e32 v5, 31, v4
	v_lshlrev_b64 v[0:1], 4, v[4:5]
	v_add_co_u32_e64 v0, s[8:9], v33, v0
	v_addc_co_u32_e64 v1, s[8:9], v34, v1, s[8:9]
	global_load_dwordx4 v[0:3], v[0:1], off
.LBB54_11:                              ;   in Loop: Header=BB54_7 Depth=2
	s_or_b64 exec, exec, s[26:27]
	s_waitcnt vmcnt(0)
	ds_write_b128 v31, v[0:3]
	s_waitcnt lgkmcnt(0)
	s_barrier
	s_and_saveexec_b64 s[8:9], s[24:25]
	s_cbranch_execz .LBB54_6
; %bb.12:                               ;   in Loop: Header=BB54_7 Depth=2
	ds_read_b128 v[0:3], v30
	ds_read_b128 v[4:7], v28
	ds_read_b128 v[8:11], v28 offset:16
	ds_read_b128 v[12:15], v28 offset:32
	;; [unrolled: 1-line block ×4, first 2 shown]
	s_waitcnt lgkmcnt(4)
	v_mul_f64 v[24:25], v[2:3], v[6:7]
	v_fma_f64 v[24:25], v[0:1], v[4:5], -v[24:25]
	v_mul_f64 v[0:1], v[0:1], v[6:7]
	v_fmac_f64_e32 v[0:1], v[2:3], v[4:5]
	v_add_f64 v[6:7], v[0:1], 0
	s_waitcnt lgkmcnt(0)
	v_mul_f64 v[0:1], v[38:39], v[10:11]
	v_add_f64 v[4:5], v[24:25], 0
	v_fma_f64 v[24:25], v[36:37], v[8:9], -v[0:1]
	ds_read_b128 v[0:3], v30 offset:1024
	v_mul_f64 v[10:11], v[36:37], v[10:11]
	v_fmac_f64_e32 v[10:11], v[38:39], v[8:9]
	v_add_f64 v[8:9], v[4:5], v[24:25]
	v_add_f64 v[10:11], v[6:7], v[10:11]
	ds_read_b128 v[4:7], v30 offset:1536
	s_waitcnt lgkmcnt(1)
	v_mul_f64 v[24:25], v[2:3], v[14:15]
	v_fma_f64 v[24:25], v[0:1], v[12:13], -v[24:25]
	v_mul_f64 v[0:1], v[0:1], v[14:15]
	v_fmac_f64_e32 v[0:1], v[2:3], v[12:13]
	v_add_f64 v[10:11], v[10:11], v[0:1]
	s_waitcnt lgkmcnt(0)
	v_mul_f64 v[0:1], v[6:7], v[22:23]
	v_mul_f64 v[14:15], v[4:5], v[22:23]
	v_add_f64 v[8:9], v[8:9], v[24:25]
	v_fma_f64 v[12:13], v[4:5], v[20:21], -v[0:1]
	v_fmac_f64_e32 v[14:15], v[6:7], v[20:21]
	ds_read_b128 v[0:3], v28 offset:64
	ds_read_b128 v[4:7], v30 offset:2048
	v_add_f64 v[20:21], v[8:9], v[12:13]
	v_add_f64 v[22:23], v[10:11], v[14:15]
	ds_read_b128 v[8:11], v30 offset:2560
	ds_read_b128 v[12:15], v28 offset:80
	s_waitcnt lgkmcnt(2)
	v_mul_f64 v[24:25], v[6:7], v[2:3]
	v_mul_f64 v[2:3], v[4:5], v[2:3]
	v_fma_f64 v[24:25], v[4:5], v[0:1], -v[24:25]
	v_fmac_f64_e32 v[2:3], v[6:7], v[0:1]
	s_waitcnt lgkmcnt(0)
	v_mul_f64 v[0:1], v[10:11], v[14:15]
	v_add_f64 v[20:21], v[20:21], v[24:25]
	v_fma_f64 v[24:25], v[8:9], v[12:13], -v[0:1]
	v_mul_f64 v[8:9], v[8:9], v[14:15]
	v_add_f64 v[22:23], v[22:23], v[2:3]
	v_fmac_f64_e32 v[8:9], v[10:11], v[12:13]
	ds_read_b128 v[0:3], v28 offset:96
	ds_read_b128 v[4:7], v30 offset:3072
	v_add_f64 v[22:23], v[22:23], v[8:9]
	ds_read_b128 v[8:11], v30 offset:3584
	ds_read_b128 v[12:15], v28 offset:112
	v_add_f64 v[20:21], v[20:21], v[24:25]
	s_waitcnt lgkmcnt(2)
	v_mul_f64 v[24:25], v[6:7], v[2:3]
	v_mul_f64 v[2:3], v[4:5], v[2:3]
	v_fma_f64 v[24:25], v[4:5], v[0:1], -v[24:25]
	v_fmac_f64_e32 v[2:3], v[6:7], v[0:1]
	s_waitcnt lgkmcnt(0)
	v_mul_f64 v[0:1], v[10:11], v[14:15]
	v_add_f64 v[20:21], v[20:21], v[24:25]
	v_fma_f64 v[24:25], v[8:9], v[12:13], -v[0:1]
	v_mul_f64 v[8:9], v[8:9], v[14:15]
	v_add_f64 v[22:23], v[22:23], v[2:3]
	v_fmac_f64_e32 v[8:9], v[10:11], v[12:13]
	ds_read_b128 v[0:3], v28 offset:128
	ds_read_b128 v[4:7], v30 offset:4096
	v_add_f64 v[22:23], v[22:23], v[8:9]
	ds_read_b128 v[8:11], v30 offset:4608
	ds_read_b128 v[12:15], v28 offset:144
	v_add_f64 v[20:21], v[20:21], v[24:25]
	;; [unrolled: 18-line block ×8, first 2 shown]
	s_waitcnt lgkmcnt(2)
	v_mul_f64 v[24:25], v[6:7], v[2:3]
	v_mul_f64 v[2:3], v[4:5], v[2:3]
	v_fma_f64 v[24:25], v[4:5], v[0:1], -v[24:25]
	v_fmac_f64_e32 v[2:3], v[6:7], v[0:1]
	s_waitcnt lgkmcnt(0)
	v_mul_f64 v[0:1], v[10:11], v[14:15]
	v_add_f64 v[20:21], v[20:21], v[24:25]
	v_fma_f64 v[24:25], v[8:9], v[12:13], -v[0:1]
	v_mul_f64 v[8:9], v[8:9], v[14:15]
	v_add_f64 v[22:23], v[22:23], v[2:3]
	v_fmac_f64_e32 v[8:9], v[10:11], v[12:13]
	ds_read_b128 v[0:3], v28 offset:352
	ds_read_b128 v[4:7], v30 offset:11264
	v_add_f64 v[22:23], v[22:23], v[8:9]
	ds_read_b128 v[8:11], v30 offset:11776
	ds_read_b128 v[12:15], v28 offset:368
	global_load_dwordx4 v[36:39], v[18:19], off
	v_add_f64 v[20:21], v[20:21], v[24:25]
	s_waitcnt lgkmcnt(2)
	v_mul_f64 v[24:25], v[6:7], v[2:3]
	v_mul_f64 v[2:3], v[4:5], v[2:3]
	v_fma_f64 v[24:25], v[4:5], v[0:1], -v[24:25]
	v_fmac_f64_e32 v[2:3], v[6:7], v[0:1]
	s_waitcnt lgkmcnt(0)
	v_mul_f64 v[0:1], v[10:11], v[14:15]
	v_add_f64 v[20:21], v[20:21], v[24:25]
	v_fma_f64 v[24:25], v[8:9], v[12:13], -v[0:1]
	v_mul_f64 v[8:9], v[8:9], v[14:15]
	v_add_f64 v[22:23], v[22:23], v[2:3]
	v_fmac_f64_e32 v[8:9], v[10:11], v[12:13]
	ds_read_b128 v[0:3], v28 offset:384
	ds_read_b128 v[4:7], v30 offset:12288
	v_add_f64 v[22:23], v[22:23], v[8:9]
	ds_read_b128 v[8:11], v30 offset:12800
	ds_read_b128 v[12:15], v28 offset:400
	v_add_f64 v[20:21], v[20:21], v[24:25]
	s_waitcnt lgkmcnt(2)
	v_mul_f64 v[24:25], v[6:7], v[2:3]
	v_mul_f64 v[2:3], v[4:5], v[2:3]
	v_fma_f64 v[24:25], v[4:5], v[0:1], -v[24:25]
	v_fmac_f64_e32 v[2:3], v[6:7], v[0:1]
	s_waitcnt lgkmcnt(0)
	v_mul_f64 v[0:1], v[10:11], v[14:15]
	v_add_f64 v[20:21], v[20:21], v[24:25]
	v_fma_f64 v[24:25], v[8:9], v[12:13], -v[0:1]
	v_mul_f64 v[8:9], v[8:9], v[14:15]
	v_add_f64 v[22:23], v[22:23], v[2:3]
	v_fmac_f64_e32 v[8:9], v[10:11], v[12:13]
	ds_read_b128 v[0:3], v28 offset:416
	ds_read_b128 v[4:7], v30 offset:13312
	v_add_f64 v[22:23], v[22:23], v[8:9]
	ds_read_b128 v[8:11], v30 offset:13824
	ds_read_b128 v[12:15], v28 offset:432
	;; [unrolled: 18-line block ×4, first 2 shown]
	v_add_f64 v[20:21], v[20:21], v[24:25]
	s_waitcnt lgkmcnt(2)
	v_mul_f64 v[24:25], v[6:7], v[2:3]
	v_mul_f64 v[2:3], v[4:5], v[2:3]
	v_fma_f64 v[24:25], v[4:5], v[0:1], -v[24:25]
	v_fmac_f64_e32 v[2:3], v[6:7], v[0:1]
	s_waitcnt lgkmcnt(0)
	v_mul_f64 v[4:5], v[10:11], v[14:15]
	v_mul_f64 v[6:7], v[8:9], v[14:15]
	v_add_f64 v[0:1], v[20:21], v[24:25]
	v_add_f64 v[2:3], v[22:23], v[2:3]
	v_fma_f64 v[4:5], v[8:9], v[12:13], -v[4:5]
	v_fmac_f64_e32 v[6:7], v[10:11], v[12:13]
	v_add_f64 v[0:1], v[0:1], v[4:5]
	v_add_f64 v[2:3], v[2:3], v[6:7]
	v_mul_f64 v[4:5], s[14:15], v[2:3]
	v_mul_f64 v[6:7], s[14:15], v[0:1]
	v_fma_f64 v[4:5], s[12:13], v[0:1], -v[4:5]
	v_fmac_f64_e32 v[6:7], s[12:13], v[2:3]
	s_waitcnt vmcnt(0)
	v_add_f64 v[0:1], v[36:37], v[4:5]
	v_add_f64 v[2:3], v[38:39], v[6:7]
	global_store_dwordx4 v[18:19], v[0:3], off
	s_branch .LBB54_6
.LBB54_13:
	s_endpgm
	.section	.rodata,"a",@progbits
	.p2align	6, 0x0
	.amdhsa_kernel _ZL24rocblas_symm_hemm_kernelILb0ELb0ELi32E19rocblas_complex_numIdEPKPKS1_PKPS1_EvbiiT2_T3_lllSA_lllT4_llli
		.amdhsa_group_segment_fixed_size 32768
		.amdhsa_private_segment_fixed_size 0
		.amdhsa_kernarg_size 392
		.amdhsa_user_sgpr_count 6
		.amdhsa_user_sgpr_private_segment_buffer 1
		.amdhsa_user_sgpr_dispatch_ptr 0
		.amdhsa_user_sgpr_queue_ptr 0
		.amdhsa_user_sgpr_kernarg_segment_ptr 1
		.amdhsa_user_sgpr_dispatch_id 0
		.amdhsa_user_sgpr_flat_scratch_init 0
		.amdhsa_user_sgpr_kernarg_preload_length 0
		.amdhsa_user_sgpr_kernarg_preload_offset 0
		.amdhsa_user_sgpr_private_segment_size 0
		.amdhsa_uses_dynamic_stack 0
		.amdhsa_system_sgpr_private_segment_wavefront_offset 0
		.amdhsa_system_sgpr_workgroup_id_x 1
		.amdhsa_system_sgpr_workgroup_id_y 1
		.amdhsa_system_sgpr_workgroup_id_z 1
		.amdhsa_system_sgpr_workgroup_info 0
		.amdhsa_system_vgpr_workitem_id 1
		.amdhsa_next_free_vgpr 40
		.amdhsa_next_free_sgpr 32
		.amdhsa_accum_offset 40
		.amdhsa_reserve_vcc 1
		.amdhsa_reserve_flat_scratch 0
		.amdhsa_float_round_mode_32 0
		.amdhsa_float_round_mode_16_64 0
		.amdhsa_float_denorm_mode_32 3
		.amdhsa_float_denorm_mode_16_64 3
		.amdhsa_dx10_clamp 1
		.amdhsa_ieee_mode 1
		.amdhsa_fp16_overflow 0
		.amdhsa_tg_split 0
		.amdhsa_exception_fp_ieee_invalid_op 0
		.amdhsa_exception_fp_denorm_src 0
		.amdhsa_exception_fp_ieee_div_zero 0
		.amdhsa_exception_fp_ieee_overflow 0
		.amdhsa_exception_fp_ieee_underflow 0
		.amdhsa_exception_fp_ieee_inexact 0
		.amdhsa_exception_int_div_zero 0
	.end_amdhsa_kernel
	.section	.text._ZL24rocblas_symm_hemm_kernelILb0ELb0ELi32E19rocblas_complex_numIdEPKPKS1_PKPS1_EvbiiT2_T3_lllSA_lllT4_llli,"axG",@progbits,_ZL24rocblas_symm_hemm_kernelILb0ELb0ELi32E19rocblas_complex_numIdEPKPKS1_PKPS1_EvbiiT2_T3_lllSA_lllT4_llli,comdat
.Lfunc_end54:
	.size	_ZL24rocblas_symm_hemm_kernelILb0ELb0ELi32E19rocblas_complex_numIdEPKPKS1_PKPS1_EvbiiT2_T3_lllSA_lllT4_llli, .Lfunc_end54-_ZL24rocblas_symm_hemm_kernelILb0ELb0ELi32E19rocblas_complex_numIdEPKPKS1_PKPS1_EvbiiT2_T3_lllSA_lllT4_llli
                                        ; -- End function
	.section	.AMDGPU.csdata,"",@progbits
; Kernel info:
; codeLenInByte = 2964
; NumSgprs: 36
; NumVgprs: 40
; NumAgprs: 0
; TotalNumVgprs: 40
; ScratchSize: 0
; MemoryBound: 1
; FloatMode: 240
; IeeeMode: 1
; LDSByteSize: 32768 bytes/workgroup (compile time only)
; SGPRBlocks: 4
; VGPRBlocks: 4
; NumSGPRsForWavesPerEU: 36
; NumVGPRsForWavesPerEU: 40
; AccumOffset: 40
; Occupancy: 8
; WaveLimiterHint : 1
; COMPUTE_PGM_RSRC2:SCRATCH_EN: 0
; COMPUTE_PGM_RSRC2:USER_SGPR: 6
; COMPUTE_PGM_RSRC2:TRAP_HANDLER: 0
; COMPUTE_PGM_RSRC2:TGID_X_EN: 1
; COMPUTE_PGM_RSRC2:TGID_Y_EN: 1
; COMPUTE_PGM_RSRC2:TGID_Z_EN: 1
; COMPUTE_PGM_RSRC2:TIDIG_COMP_CNT: 1
; COMPUTE_PGM_RSRC3_GFX90A:ACCUM_OFFSET: 9
; COMPUTE_PGM_RSRC3_GFX90A:TG_SPLIT: 0
	.section	.text._ZL24rocblas_symm_hemm_kernelILb0ELb1ELi32E19rocblas_complex_numIdEPKPKS1_PKPS1_EvbiiT2_T3_lllSA_lllT4_llli,"axG",@progbits,_ZL24rocblas_symm_hemm_kernelILb0ELb1ELi32E19rocblas_complex_numIdEPKPKS1_PKPS1_EvbiiT2_T3_lllSA_lllT4_llli,comdat
	.globl	_ZL24rocblas_symm_hemm_kernelILb0ELb1ELi32E19rocblas_complex_numIdEPKPKS1_PKPS1_EvbiiT2_T3_lllSA_lllT4_llli ; -- Begin function _ZL24rocblas_symm_hemm_kernelILb0ELb1ELi32E19rocblas_complex_numIdEPKPKS1_PKPS1_EvbiiT2_T3_lllSA_lllT4_llli
	.p2align	8
	.type	_ZL24rocblas_symm_hemm_kernelILb0ELb1ELi32E19rocblas_complex_numIdEPKPKS1_PKPS1_EvbiiT2_T3_lllSA_lllT4_llli,@function
_ZL24rocblas_symm_hemm_kernelILb0ELb1ELi32E19rocblas_complex_numIdEPKPKS1_PKPS1_EvbiiT2_T3_lllSA_lllT4_llli: ; @_ZL24rocblas_symm_hemm_kernelILb0ELb1ELi32E19rocblas_complex_numIdEPKPKS1_PKPS1_EvbiiT2_T3_lllSA_lllT4_llli
; %bb.0:
	s_load_dwordx8 s[12:19], s[4:5], 0x10
	s_waitcnt lgkmcnt(0)
	v_cmp_eq_f64_e64 s[0:1], s[12:13], 0
	v_cmp_eq_f64_e64 s[2:3], s[14:15], 0
	s_and_b64 s[0:1], s[0:1], s[2:3]
	s_and_b64 vcc, exec, s[0:1]
	s_cbranch_vccnz .LBB55_13
; %bb.1:
	s_load_dwordx4 s[20:23], s[4:5], 0x0
	s_waitcnt lgkmcnt(0)
	s_add_i32 s0, s22, -1
	s_ashr_i32 s1, s0, 31
	s_lshr_b32 s1, s1, 27
	s_add_i32 s0, s0, s1
	s_ashr_i32 s23, s0, 5
	s_cmp_gt_i32 s7, s23
	s_cbranch_scc1 .LBB55_13
; %bb.2:
	s_mov_b32 s9, 0
	s_lshl_b64 s[26:27], s[8:9], 3
	s_add_u32 s16, s16, s26
	s_addc_u32 s17, s17, s27
	s_load_dwordx2 s[24:25], s[16:17], 0x0
	s_load_dwordx2 s[8:9], s[4:5], 0x30
	s_load_dwordx4 s[0:3], s[4:5], 0x40
	s_load_dwordx2 s[10:11], s[4:5], 0x50
	s_load_dwordx4 s[28:31], s[4:5], 0x60
	s_lshl_b64 s[16:17], s[18:19], 4
	s_waitcnt lgkmcnt(0)
	s_add_u32 s24, s24, s16
	s_addc_u32 s25, s25, s17
	s_add_u32 s0, s0, s26
	s_addc_u32 s1, s1, s27
	;; [unrolled: 2-line block ×3, first 2 shown]
	s_load_dwordx2 s[18:19], s[16:17], 0x0
	s_load_dwordx2 s[26:27], s[0:1], 0x0
	s_bitcmp1_b32 s20, 0
	s_cselect_b64 s[0:1], -1, 0
	s_lshl_b64 s[16:17], s[30:31], 4
	s_waitcnt lgkmcnt(0)
	s_add_u32 s18, s18, s16
	v_and_b32_e32 v24, 0x3ff, v0
	s_addc_u32 s16, s19, s17
	s_lshl_b64 s[2:3], s[2:3], 4
	v_lshl_add_u32 v2, s6, 5, v24
	s_add_u32 s17, s26, s2
	v_ashrrev_i32_e32 v3, 31, v2
	s_addc_u32 s19, s27, s3
	v_bfe_u32 v25, v0, 10, 10
	v_lshlrev_b64 v[0:1], 4, v[2:3]
	v_cmp_gt_i32_e64 s[2:3], s21, v2
	v_mov_b32_e32 v2, s19
	v_add_co_u32_e32 v26, vcc, s17, v0
	v_addc_co_u32_e32 v27, vcc, v2, v1, vcc
	v_lshlrev_b32_e32 v2, 4, v25
	v_lshlrev_b32_e32 v28, 9, v24
	v_add_u32_e32 v29, v28, v2
	v_or_b32_e32 v30, 0x4000, v2
	v_mov_b32_e32 v2, s16
	s_load_dwordx2 s[16:17], s[4:5], 0x70
	s_load_dword s6, s[4:5], 0x8c
	s_cmp_gt_i32 s22, 0
	s_cselect_b64 s[4:5], -1, 0
	v_add_co_u32_e32 v32, vcc, s18, v0
	v_cndmask_b32_e64 v0, 0, 1, s[4:5]
	v_add_u32_e32 v31, v30, v28
	v_addc_co_u32_e32 v33, vcc, v2, v1, vcc
	v_cmp_ne_u32_e64 s[4:5], 1, v0
	s_branch .LBB55_4
.LBB55_3:                               ;   in Loop: Header=BB55_4 Depth=1
	s_waitcnt lgkmcnt(0)
	s_add_i32 s7, s7, s6
	s_cmp_gt_i32 s7, s23
	s_cbranch_scc1 .LBB55_13
.LBB55_4:                               ; =>This Loop Header: Depth=1
                                        ;     Child Loop BB55_7 Depth 2
	s_and_b64 vcc, exec, s[4:5]
	s_cbranch_vccnz .LBB55_3
; %bb.5:                                ;   in Loop: Header=BB55_4 Depth=1
	v_lshl_add_u32 v34, s7, 5, v25
	v_ashrrev_i32_e32 v0, 31, v34
	s_waitcnt lgkmcnt(0)
	v_mul_lo_u32 v2, v0, s16
	v_mul_lo_u32 v3, v34, s17
	v_mad_u64_u32 v[0:1], s[20:21], v34, s16, 0
	v_add3_u32 v1, v1, v3, v2
	v_cmp_gt_i32_e32 vcc, s22, v34
	v_lshlrev_b64 v[0:1], 4, v[0:1]
	s_and_b64 s[18:19], s[2:3], vcc
	v_add_co_u32_e32 v16, vcc, v32, v0
	v_addc_co_u32_e32 v17, vcc, v33, v1, vcc
	s_mov_b32 s26, 0
	s_branch .LBB55_7
.LBB55_6:                               ;   in Loop: Header=BB55_7 Depth=2
	s_or_b64 exec, exec, s[20:21]
	s_add_i32 s26, s26, 32
	s_cmp_ge_i32 s26, s22
	s_barrier
	s_cbranch_scc1 .LBB55_3
.LBB55_7:                               ;   Parent Loop BB55_4 Depth=1
                                        ; =>  This Inner Loop Header: Depth=2
	v_add_u32_e32 v6, s26, v25
	v_cmp_gt_i32_e32 vcc, s22, v6
	v_pk_mov_b32 v[0:1], 0, 0
	s_and_b64 s[28:29], s[2:3], vcc
	v_pk_mov_b32 v[2:3], v[0:1], v[0:1] op_sel:[0,1]
	v_pk_mov_b32 v[4:5], v[0:1], v[0:1] op_sel:[0,1]
	s_and_saveexec_b64 s[20:21], s[28:29]
	s_cbranch_execz .LBB55_9
; %bb.8:                                ;   in Loop: Header=BB55_7 Depth=2
	v_ashrrev_i32_e32 v2, 31, v6
	v_mul_lo_u32 v4, v6, s11
	v_mul_lo_u32 v5, v2, s10
	v_mad_u64_u32 v[2:3], s[28:29], v6, s10, 0
	v_add3_u32 v3, v3, v4, v5
	v_lshlrev_b64 v[2:3], 4, v[2:3]
	v_add_co_u32_e32 v2, vcc, v26, v2
	v_addc_co_u32_e32 v3, vcc, v27, v3, vcc
	global_load_dwordx4 v[2:5], v[2:3], off
.LBB55_9:                               ;   in Loop: Header=BB55_7 Depth=2
	s_or_b64 exec, exec, s[20:21]
	s_waitcnt vmcnt(0)
	ds_write_b128 v29, v[2:5]
	v_add_u32_e32 v2, s26, v24
	v_cndmask_b32_e64 v3, v34, v2, s[0:1]
	v_cndmask_b32_e64 v4, v2, v34, s[0:1]
	v_cmp_gt_i32_e32 vcc, v3, v4
	v_cndmask_b32_e32 v4, v2, v34, vcc
	v_cndmask_b32_e32 v5, v34, v2, vcc
	v_max_i32_e32 v2, v4, v5
	v_cmp_gt_i32_e32 vcc, s22, v2
	v_pk_mov_b32 v[2:3], v[0:1], v[0:1] op_sel:[0,1]
	s_and_saveexec_b64 s[20:21], vcc
	s_cbranch_execz .LBB55_11
; %bb.10:                               ;   in Loop: Header=BB55_7 Depth=2
	v_ashrrev_i32_e32 v0, 31, v5
	v_mul_lo_u32 v2, v5, s9
	v_mul_lo_u32 v3, v0, s8
	v_mad_u64_u32 v[0:1], s[28:29], v5, s8, 0
	v_add3_u32 v1, v1, v2, v3
	v_lshlrev_b64 v[0:1], 4, v[0:1]
	v_ashrrev_i32_e32 v5, 31, v4
	v_mov_b32_e32 v2, s25
	v_add_co_u32_e32 v3, vcc, s24, v0
	v_addc_co_u32_e32 v2, vcc, v2, v1, vcc
	v_lshlrev_b64 v[0:1], 4, v[4:5]
	v_add_co_u32_e32 v0, vcc, v3, v0
	v_addc_co_u32_e32 v1, vcc, v2, v1, vcc
	global_load_dwordx4 v[0:3], v[0:1], off
.LBB55_11:                              ;   in Loop: Header=BB55_7 Depth=2
	s_or_b64 exec, exec, s[20:21]
	s_waitcnt vmcnt(0)
	ds_write_b128 v31, v[0:3]
	s_waitcnt lgkmcnt(0)
	s_barrier
	s_and_saveexec_b64 s[20:21], s[18:19]
	s_cbranch_execz .LBB55_6
; %bb.12:                               ;   in Loop: Header=BB55_7 Depth=2
	ds_read_b128 v[0:3], v30
	ds_read_b128 v[4:7], v28
	ds_read_b128 v[8:11], v28 offset:16
	ds_read_b128 v[12:15], v28 offset:32
	;; [unrolled: 1-line block ×4, first 2 shown]
	s_waitcnt lgkmcnt(4)
	v_mul_f64 v[22:23], v[2:3], v[6:7]
	v_fma_f64 v[22:23], v[0:1], v[4:5], -v[22:23]
	v_mul_f64 v[0:1], v[0:1], v[6:7]
	v_fmac_f64_e32 v[0:1], v[2:3], v[4:5]
	v_add_f64 v[6:7], v[0:1], 0
	s_waitcnt lgkmcnt(0)
	v_mul_f64 v[0:1], v[38:39], v[10:11]
	v_add_f64 v[4:5], v[22:23], 0
	v_fma_f64 v[22:23], v[36:37], v[8:9], -v[0:1]
	ds_read_b128 v[0:3], v30 offset:1024
	v_mul_f64 v[10:11], v[36:37], v[10:11]
	v_fmac_f64_e32 v[10:11], v[38:39], v[8:9]
	v_add_f64 v[8:9], v[4:5], v[22:23]
	v_add_f64 v[10:11], v[6:7], v[10:11]
	ds_read_b128 v[4:7], v30 offset:1536
	s_waitcnt lgkmcnt(1)
	v_mul_f64 v[22:23], v[2:3], v[14:15]
	v_fma_f64 v[22:23], v[0:1], v[12:13], -v[22:23]
	v_mul_f64 v[0:1], v[0:1], v[14:15]
	v_fmac_f64_e32 v[0:1], v[2:3], v[12:13]
	v_add_f64 v[10:11], v[10:11], v[0:1]
	s_waitcnt lgkmcnt(0)
	v_mul_f64 v[0:1], v[6:7], v[20:21]
	v_mul_f64 v[14:15], v[4:5], v[20:21]
	v_add_f64 v[8:9], v[8:9], v[22:23]
	v_fma_f64 v[12:13], v[4:5], v[18:19], -v[0:1]
	v_fmac_f64_e32 v[14:15], v[6:7], v[18:19]
	ds_read_b128 v[0:3], v28 offset:64
	ds_read_b128 v[4:7], v30 offset:2048
	v_add_f64 v[18:19], v[8:9], v[12:13]
	v_add_f64 v[20:21], v[10:11], v[14:15]
	ds_read_b128 v[8:11], v30 offset:2560
	ds_read_b128 v[12:15], v28 offset:80
	s_waitcnt lgkmcnt(2)
	v_mul_f64 v[22:23], v[6:7], v[2:3]
	v_mul_f64 v[2:3], v[4:5], v[2:3]
	v_fma_f64 v[22:23], v[4:5], v[0:1], -v[22:23]
	v_fmac_f64_e32 v[2:3], v[6:7], v[0:1]
	s_waitcnt lgkmcnt(0)
	v_mul_f64 v[0:1], v[10:11], v[14:15]
	v_add_f64 v[18:19], v[18:19], v[22:23]
	v_fma_f64 v[22:23], v[8:9], v[12:13], -v[0:1]
	v_mul_f64 v[8:9], v[8:9], v[14:15]
	v_add_f64 v[20:21], v[20:21], v[2:3]
	v_fmac_f64_e32 v[8:9], v[10:11], v[12:13]
	ds_read_b128 v[0:3], v28 offset:96
	ds_read_b128 v[4:7], v30 offset:3072
	v_add_f64 v[20:21], v[20:21], v[8:9]
	ds_read_b128 v[8:11], v30 offset:3584
	ds_read_b128 v[12:15], v28 offset:112
	v_add_f64 v[18:19], v[18:19], v[22:23]
	s_waitcnt lgkmcnt(2)
	v_mul_f64 v[22:23], v[6:7], v[2:3]
	v_mul_f64 v[2:3], v[4:5], v[2:3]
	v_fma_f64 v[22:23], v[4:5], v[0:1], -v[22:23]
	v_fmac_f64_e32 v[2:3], v[6:7], v[0:1]
	s_waitcnt lgkmcnt(0)
	v_mul_f64 v[0:1], v[10:11], v[14:15]
	v_add_f64 v[18:19], v[18:19], v[22:23]
	v_fma_f64 v[22:23], v[8:9], v[12:13], -v[0:1]
	v_mul_f64 v[8:9], v[8:9], v[14:15]
	v_add_f64 v[20:21], v[20:21], v[2:3]
	v_fmac_f64_e32 v[8:9], v[10:11], v[12:13]
	ds_read_b128 v[0:3], v28 offset:128
	ds_read_b128 v[4:7], v30 offset:4096
	v_add_f64 v[20:21], v[20:21], v[8:9]
	ds_read_b128 v[8:11], v30 offset:4608
	ds_read_b128 v[12:15], v28 offset:144
	v_add_f64 v[18:19], v[18:19], v[22:23]
	;; [unrolled: 18-line block ×8, first 2 shown]
	s_waitcnt lgkmcnt(2)
	v_mul_f64 v[22:23], v[6:7], v[2:3]
	v_mul_f64 v[2:3], v[4:5], v[2:3]
	v_fma_f64 v[22:23], v[4:5], v[0:1], -v[22:23]
	v_fmac_f64_e32 v[2:3], v[6:7], v[0:1]
	s_waitcnt lgkmcnt(0)
	v_mul_f64 v[0:1], v[10:11], v[14:15]
	v_add_f64 v[18:19], v[18:19], v[22:23]
	v_fma_f64 v[22:23], v[8:9], v[12:13], -v[0:1]
	v_mul_f64 v[8:9], v[8:9], v[14:15]
	v_add_f64 v[20:21], v[20:21], v[2:3]
	v_fmac_f64_e32 v[8:9], v[10:11], v[12:13]
	ds_read_b128 v[0:3], v28 offset:352
	ds_read_b128 v[4:7], v30 offset:11264
	v_add_f64 v[20:21], v[20:21], v[8:9]
	ds_read_b128 v[8:11], v30 offset:11776
	ds_read_b128 v[12:15], v28 offset:368
	global_load_dwordx4 v[36:39], v[16:17], off
	v_add_f64 v[18:19], v[18:19], v[22:23]
	s_waitcnt lgkmcnt(2)
	v_mul_f64 v[22:23], v[6:7], v[2:3]
	v_mul_f64 v[2:3], v[4:5], v[2:3]
	v_fma_f64 v[22:23], v[4:5], v[0:1], -v[22:23]
	v_fmac_f64_e32 v[2:3], v[6:7], v[0:1]
	s_waitcnt lgkmcnt(0)
	v_mul_f64 v[0:1], v[10:11], v[14:15]
	v_add_f64 v[18:19], v[18:19], v[22:23]
	v_fma_f64 v[22:23], v[8:9], v[12:13], -v[0:1]
	v_mul_f64 v[8:9], v[8:9], v[14:15]
	v_add_f64 v[20:21], v[20:21], v[2:3]
	v_fmac_f64_e32 v[8:9], v[10:11], v[12:13]
	ds_read_b128 v[0:3], v28 offset:384
	ds_read_b128 v[4:7], v30 offset:12288
	v_add_f64 v[20:21], v[20:21], v[8:9]
	ds_read_b128 v[8:11], v30 offset:12800
	ds_read_b128 v[12:15], v28 offset:400
	v_add_f64 v[18:19], v[18:19], v[22:23]
	s_waitcnt lgkmcnt(2)
	v_mul_f64 v[22:23], v[6:7], v[2:3]
	v_mul_f64 v[2:3], v[4:5], v[2:3]
	v_fma_f64 v[22:23], v[4:5], v[0:1], -v[22:23]
	v_fmac_f64_e32 v[2:3], v[6:7], v[0:1]
	s_waitcnt lgkmcnt(0)
	v_mul_f64 v[0:1], v[10:11], v[14:15]
	v_add_f64 v[18:19], v[18:19], v[22:23]
	v_fma_f64 v[22:23], v[8:9], v[12:13], -v[0:1]
	v_mul_f64 v[8:9], v[8:9], v[14:15]
	v_add_f64 v[20:21], v[20:21], v[2:3]
	v_fmac_f64_e32 v[8:9], v[10:11], v[12:13]
	ds_read_b128 v[0:3], v28 offset:416
	ds_read_b128 v[4:7], v30 offset:13312
	v_add_f64 v[20:21], v[20:21], v[8:9]
	ds_read_b128 v[8:11], v30 offset:13824
	ds_read_b128 v[12:15], v28 offset:432
	;; [unrolled: 18-line block ×4, first 2 shown]
	v_add_f64 v[18:19], v[18:19], v[22:23]
	s_waitcnt lgkmcnt(2)
	v_mul_f64 v[22:23], v[6:7], v[2:3]
	v_mul_f64 v[2:3], v[4:5], v[2:3]
	v_fma_f64 v[22:23], v[4:5], v[0:1], -v[22:23]
	v_fmac_f64_e32 v[2:3], v[6:7], v[0:1]
	s_waitcnt lgkmcnt(0)
	v_mul_f64 v[4:5], v[10:11], v[14:15]
	v_mul_f64 v[6:7], v[8:9], v[14:15]
	v_add_f64 v[0:1], v[18:19], v[22:23]
	v_add_f64 v[2:3], v[20:21], v[2:3]
	v_fma_f64 v[4:5], v[8:9], v[12:13], -v[4:5]
	v_fmac_f64_e32 v[6:7], v[10:11], v[12:13]
	v_add_f64 v[0:1], v[0:1], v[4:5]
	v_add_f64 v[2:3], v[2:3], v[6:7]
	v_mul_f64 v[4:5], s[14:15], v[2:3]
	v_mul_f64 v[6:7], s[14:15], v[0:1]
	v_fma_f64 v[4:5], s[12:13], v[0:1], -v[4:5]
	v_fmac_f64_e32 v[6:7], s[12:13], v[2:3]
	s_waitcnt vmcnt(0)
	v_add_f64 v[0:1], v[36:37], v[4:5]
	v_add_f64 v[2:3], v[38:39], v[6:7]
	global_store_dwordx4 v[16:17], v[0:3], off
	s_branch .LBB55_6
.LBB55_13:
	s_endpgm
	.section	.rodata,"a",@progbits
	.p2align	6, 0x0
	.amdhsa_kernel _ZL24rocblas_symm_hemm_kernelILb0ELb1ELi32E19rocblas_complex_numIdEPKPKS1_PKPS1_EvbiiT2_T3_lllSA_lllT4_llli
		.amdhsa_group_segment_fixed_size 32768
		.amdhsa_private_segment_fixed_size 0
		.amdhsa_kernarg_size 392
		.amdhsa_user_sgpr_count 6
		.amdhsa_user_sgpr_private_segment_buffer 1
		.amdhsa_user_sgpr_dispatch_ptr 0
		.amdhsa_user_sgpr_queue_ptr 0
		.amdhsa_user_sgpr_kernarg_segment_ptr 1
		.amdhsa_user_sgpr_dispatch_id 0
		.amdhsa_user_sgpr_flat_scratch_init 0
		.amdhsa_user_sgpr_kernarg_preload_length 0
		.amdhsa_user_sgpr_kernarg_preload_offset 0
		.amdhsa_user_sgpr_private_segment_size 0
		.amdhsa_uses_dynamic_stack 0
		.amdhsa_system_sgpr_private_segment_wavefront_offset 0
		.amdhsa_system_sgpr_workgroup_id_x 1
		.amdhsa_system_sgpr_workgroup_id_y 1
		.amdhsa_system_sgpr_workgroup_id_z 1
		.amdhsa_system_sgpr_workgroup_info 0
		.amdhsa_system_vgpr_workitem_id 1
		.amdhsa_next_free_vgpr 40
		.amdhsa_next_free_sgpr 32
		.amdhsa_accum_offset 40
		.amdhsa_reserve_vcc 1
		.amdhsa_reserve_flat_scratch 0
		.amdhsa_float_round_mode_32 0
		.amdhsa_float_round_mode_16_64 0
		.amdhsa_float_denorm_mode_32 3
		.amdhsa_float_denorm_mode_16_64 3
		.amdhsa_dx10_clamp 1
		.amdhsa_ieee_mode 1
		.amdhsa_fp16_overflow 0
		.amdhsa_tg_split 0
		.amdhsa_exception_fp_ieee_invalid_op 0
		.amdhsa_exception_fp_denorm_src 0
		.amdhsa_exception_fp_ieee_div_zero 0
		.amdhsa_exception_fp_ieee_overflow 0
		.amdhsa_exception_fp_ieee_underflow 0
		.amdhsa_exception_fp_ieee_inexact 0
		.amdhsa_exception_int_div_zero 0
	.end_amdhsa_kernel
	.section	.text._ZL24rocblas_symm_hemm_kernelILb0ELb1ELi32E19rocblas_complex_numIdEPKPKS1_PKPS1_EvbiiT2_T3_lllSA_lllT4_llli,"axG",@progbits,_ZL24rocblas_symm_hemm_kernelILb0ELb1ELi32E19rocblas_complex_numIdEPKPKS1_PKPS1_EvbiiT2_T3_lllSA_lllT4_llli,comdat
.Lfunc_end55:
	.size	_ZL24rocblas_symm_hemm_kernelILb0ELb1ELi32E19rocblas_complex_numIdEPKPKS1_PKPS1_EvbiiT2_T3_lllSA_lllT4_llli, .Lfunc_end55-_ZL24rocblas_symm_hemm_kernelILb0ELb1ELi32E19rocblas_complex_numIdEPKPKS1_PKPS1_EvbiiT2_T3_lllSA_lllT4_llli
                                        ; -- End function
	.section	.AMDGPU.csdata,"",@progbits
; Kernel info:
; codeLenInByte = 2892
; NumSgprs: 36
; NumVgprs: 40
; NumAgprs: 0
; TotalNumVgprs: 40
; ScratchSize: 0
; MemoryBound: 1
; FloatMode: 240
; IeeeMode: 1
; LDSByteSize: 32768 bytes/workgroup (compile time only)
; SGPRBlocks: 4
; VGPRBlocks: 4
; NumSGPRsForWavesPerEU: 36
; NumVGPRsForWavesPerEU: 40
; AccumOffset: 40
; Occupancy: 8
; WaveLimiterHint : 1
; COMPUTE_PGM_RSRC2:SCRATCH_EN: 0
; COMPUTE_PGM_RSRC2:USER_SGPR: 6
; COMPUTE_PGM_RSRC2:TRAP_HANDLER: 0
; COMPUTE_PGM_RSRC2:TGID_X_EN: 1
; COMPUTE_PGM_RSRC2:TGID_Y_EN: 1
; COMPUTE_PGM_RSRC2:TGID_Z_EN: 1
; COMPUTE_PGM_RSRC2:TIDIG_COMP_CNT: 1
; COMPUTE_PGM_RSRC3_GFX90A:ACCUM_OFFSET: 9
; COMPUTE_PGM_RSRC3_GFX90A:TG_SPLIT: 0
	.section	.text._ZL24rocblas_symm_hemm_kernelILb1ELb0ELi32EPK19rocblas_complex_numIfEPKS3_PKPS1_EvbiiT2_T3_lllSA_lllT4_llli,"axG",@progbits,_ZL24rocblas_symm_hemm_kernelILb1ELb0ELi32EPK19rocblas_complex_numIfEPKS3_PKPS1_EvbiiT2_T3_lllSA_lllT4_llli,comdat
	.globl	_ZL24rocblas_symm_hemm_kernelILb1ELb0ELi32EPK19rocblas_complex_numIfEPKS3_PKPS1_EvbiiT2_T3_lllSA_lllT4_llli ; -- Begin function _ZL24rocblas_symm_hemm_kernelILb1ELb0ELi32EPK19rocblas_complex_numIfEPKS3_PKPS1_EvbiiT2_T3_lllSA_lllT4_llli
	.p2align	8
	.type	_ZL24rocblas_symm_hemm_kernelILb1ELb0ELi32EPK19rocblas_complex_numIfEPKS3_PKPS1_EvbiiT2_T3_lllSA_lllT4_llli,@function
_ZL24rocblas_symm_hemm_kernelILb1ELb0ELi32EPK19rocblas_complex_numIfEPKS3_PKPS1_EvbiiT2_T3_lllSA_lllT4_llli: ; @_ZL24rocblas_symm_hemm_kernelILb1ELb0ELi32EPK19rocblas_complex_numIfEPKS3_PKPS1_EvbiiT2_T3_lllSA_lllT4_llli
; %bb.0:
	s_load_dwordx8 s[12:19], s[4:5], 0x10
	s_waitcnt lgkmcnt(0)
	s_load_dwordx2 s[10:11], s[12:13], 0x0
	s_waitcnt lgkmcnt(0)
	v_cmp_eq_f32_e64 s[0:1], s10, 0
	v_cmp_eq_f32_e64 s[2:3], s11, 0
	s_and_b64 s[0:1], s[0:1], s[2:3]
	s_and_b64 vcc, exec, s[0:1]
	s_cbranch_vccnz .LBB56_21
; %bb.1:
	s_load_dwordx4 s[20:23], s[4:5], 0x0
	s_waitcnt lgkmcnt(0)
	s_add_i32 s0, s22, -1
	s_ashr_i32 s1, s0, 31
	s_lshr_b32 s1, s1, 27
	s_add_i32 s0, s0, s1
	s_ashr_i32 s23, s0, 5
	s_cmp_gt_i32 s7, s23
	s_cbranch_scc1 .LBB56_21
; %bb.2:
	s_load_dwordx4 s[0:3], s[4:5], 0x38
	s_load_dwordx2 s[12:13], s[4:5], 0x48
	s_mov_b32 s9, 0
	s_lshl_b64 s[8:9], s[8:9], 3
	s_add_u32 s28, s14, s8
	s_addc_u32 s29, s15, s9
	s_waitcnt lgkmcnt(0)
	s_add_u32 s0, s0, s8
	s_addc_u32 s1, s1, s9
	s_load_dwordx2 s[30:31], s[0:1], 0x0
	s_load_dwordx4 s[24:27], s[4:5], 0x58
	s_load_dwordx2 s[14:15], s[4:5], 0x68
	s_lshl_b64 s[0:1], s[2:3], 3
	v_and_b32_e32 v14, 0x3ff, v0
	s_waitcnt lgkmcnt(0)
	s_add_u32 s30, s30, s0
	s_addc_u32 s31, s31, s1
	s_add_u32 s0, s24, s8
	s_addc_u32 s1, s25, s9
	s_load_dwordx2 s[2:3], s[0:1], 0x0
	s_load_dwordx2 s[8:9], s[28:29], 0x0
	s_bitcmp1_b32 s20, 0
	s_cselect_b64 s[0:1], -1, 0
	s_lshl_b64 s[24:25], s[26:27], 3
	s_waitcnt lgkmcnt(0)
	s_add_u32 s20, s2, s24
	s_addc_u32 s24, s3, s25
	s_lshl_b64 s[2:3], s[16:17], 3
	v_lshl_add_u32 v8, s6, 5, v14
	s_add_u32 s8, s8, s2
	v_ashrrev_i32_e32 v9, 31, v8
	s_addc_u32 s9, s9, s3
	v_bfe_u32 v15, v0, 10, 10
	v_lshlrev_b64 v[0:1], 3, v[8:9]
	v_mov_b32_e32 v2, s9
	v_add_co_u32_e32 v16, vcc, s8, v0
	v_addc_co_u32_e32 v17, vcc, v2, v1, vcc
	v_mul_lo_u32 v4, v9, s18
	v_mul_lo_u32 v5, v8, s19
	v_mad_u64_u32 v[2:3], s[2:3], v8, s18, 0
	v_add3_u32 v3, v3, v5, v4
	v_lshlrev_b64 v[2:3], 3, v[2:3]
	v_mov_b32_e32 v4, s9
	v_add_co_u32_e32 v9, vcc, s8, v2
	v_addc_co_u32_e32 v18, vcc, v4, v3, vcc
	v_lshlrev_b32_e32 v4, 3, v15
	v_lshlrev_b32_e32 v19, 8, v14
	s_load_dword s6, s[4:5], 0x84
	v_add_u32_e32 v20, v19, v4
	v_or_b32_e32 v21, 0x2000, v4
	v_mov_b32_e32 v4, s24
	v_add_co_u32_e32 v23, vcc, s20, v0
	v_addc_co_u32_e32 v24, vcc, v4, v1, vcc
	s_cmp_gt_i32 s21, 0
	v_add_co_u32_e32 v10, vcc, v16, v2
	v_add_u32_e32 v22, v21, v19
	v_cmp_gt_i32_e64 s[2:3], s21, v8
	v_addc_co_u32_e32 v11, vcc, v17, v3, vcc
	s_cselect_b64 s[16:17], -1, 0
	s_branch .LBB56_4
.LBB56_3:                               ;   in Loop: Header=BB56_4 Depth=1
	s_waitcnt lgkmcnt(0)
	s_add_i32 s7, s7, s6
	s_cmp_gt_i32 s7, s23
	s_cbranch_scc1 .LBB56_21
.LBB56_4:                               ; =>This Loop Header: Depth=1
                                        ;     Child Loop BB56_7 Depth 2
	s_andn2_b64 vcc, exec, s[16:17]
	s_cbranch_vccnz .LBB56_3
; %bb.5:                                ;   in Loop: Header=BB56_4 Depth=1
	v_lshl_add_u32 v2, s7, 5, v15
	v_ashrrev_i32_e32 v3, 31, v2
	v_mul_lo_u32 v4, v3, s12
	v_mul_lo_u32 v5, v2, s13
	v_mad_u64_u32 v[0:1], s[4:5], v2, s12, 0
	v_add3_u32 v1, v1, v5, v4
	v_lshlrev_b64 v[0:1], 3, v[0:1]
	v_mov_b32_e32 v4, s31
	v_add_co_u32_e64 v25, s[4:5], s30, v0
	v_addc_co_u32_e64 v26, s[4:5], v4, v1, s[4:5]
	v_mul_lo_u32 v3, v3, s14
	v_mul_lo_u32 v4, v2, s15
	v_mad_u64_u32 v[0:1], s[4:5], v2, s14, 0
	v_add3_u32 v1, v1, v4, v3
	v_lshlrev_b64 v[0:1], 3, v[0:1]
	v_cmp_gt_i32_e32 vcc, s22, v2
	v_add_co_u32_e64 v12, s[4:5], v23, v0
	s_and_b64 s[24:25], s[2:3], vcc
	v_addc_co_u32_e64 v13, s[4:5], v24, v1, s[4:5]
	s_mov_b32 s20, 0
	s_branch .LBB56_7
.LBB56_6:                               ;   in Loop: Header=BB56_7 Depth=2
	s_or_b64 exec, exec, s[4:5]
	s_add_i32 s20, s20, 32
	s_cmp_ge_i32 s20, s21
	s_barrier
	s_cbranch_scc1 .LBB56_3
.LBB56_7:                               ;   Parent Loop BB56_4 Depth=1
                                        ; =>  This Inner Loop Header: Depth=2
	v_add_u32_e32 v4, s20, v15
	v_cndmask_b32_e64 v0, v4, v8, s[0:1]
	v_cndmask_b32_e64 v1, v8, v4, s[0:1]
	v_cmp_gt_i32_e64 s[8:9], v0, v1
	v_cmp_le_i32_e64 s[4:5], v0, v1
	v_cndmask_b32_e64 v0, v8, v4, s[8:9]
	v_cndmask_b32_e64 v1, v4, v8, s[8:9]
	v_max_i32_e32 v0, v0, v1
	v_cmp_gt_i32_e64 s[8:9], s21, v0
	v_mov_b32_e32 v0, 0
	v_mov_b32_e32 v2, 0
	;; [unrolled: 1-line block ×3, first 2 shown]
	s_and_saveexec_b64 s[26:27], s[8:9]
	s_cbranch_execz .LBB56_17
; %bb.8:                                ;   in Loop: Header=BB56_7 Depth=2
                                        ; implicit-def: $vgpr3
	s_and_saveexec_b64 s[8:9], s[4:5]
	s_xor_b64 s[8:9], exec, s[8:9]
	s_cbranch_execz .LBB56_14
; %bb.9:                                ;   in Loop: Header=BB56_7 Depth=2
	v_cmp_ne_u32_e64 s[4:5], v4, v8
                                        ; implicit-def: $vgpr3
	s_and_saveexec_b64 s[28:29], s[4:5]
	s_xor_b64 s[28:29], exec, s[28:29]
	s_cbranch_execz .LBB56_11
; %bb.10:                               ;   in Loop: Header=BB56_7 Depth=2
	v_ashrrev_i32_e32 v1, 31, v4
	v_mul_lo_u32 v5, v4, s19
	v_mul_lo_u32 v1, v1, s18
	v_mad_u64_u32 v[2:3], s[4:5], v4, s18, 0
	v_add3_u32 v3, v3, v5, v1
	v_lshlrev_b64 v[2:3], 3, v[2:3]
	v_add_co_u32_e64 v2, s[4:5], v16, v2
	v_addc_co_u32_e64 v3, s[4:5], v17, v3, s[4:5]
	global_load_dwordx2 v[2:3], v[2:3], off
.LBB56_11:                              ;   in Loop: Header=BB56_7 Depth=2
	s_andn2_saveexec_b64 s[4:5], s[28:29]
	s_cbranch_execz .LBB56_13
; %bb.12:                               ;   in Loop: Header=BB56_7 Depth=2
	global_load_dword v2, v[10:11], off
	s_waitcnt vmcnt(1)
	v_mov_b32_e32 v3, 0
.LBB56_13:                              ;   in Loop: Header=BB56_7 Depth=2
	s_or_b64 exec, exec, s[4:5]
                                        ; implicit-def: $vgpr4
.LBB56_14:                              ;   in Loop: Header=BB56_7 Depth=2
	s_andn2_saveexec_b64 s[8:9], s[8:9]
	s_cbranch_execz .LBB56_16
; %bb.15:                               ;   in Loop: Header=BB56_7 Depth=2
	v_ashrrev_i32_e32 v5, 31, v4
	s_waitcnt vmcnt(0)
	v_lshlrev_b64 v[2:3], 3, v[4:5]
	v_add_co_u32_e64 v2, s[4:5], v9, v2
	v_addc_co_u32_e64 v3, s[4:5], v18, v3, s[4:5]
	global_load_dwordx2 v[2:3], v[2:3], off
	s_waitcnt vmcnt(0)
	v_xor_b32_e32 v3, 0x80000000, v3
.LBB56_16:                              ;   in Loop: Header=BB56_7 Depth=2
	s_or_b64 exec, exec, s[8:9]
.LBB56_17:                              ;   in Loop: Header=BB56_7 Depth=2
	s_or_b64 exec, exec, s[26:27]
	s_waitcnt vmcnt(0)
	ds_write_b64 v20, v[2:3]
	v_add_u32_e32 v2, s20, v14
	v_cmp_gt_i32_e64 s[4:5], s21, v2
	s_and_b64 s[4:5], s[4:5], vcc
	v_mov_b32_e32 v1, 0
	s_and_saveexec_b64 s[8:9], s[4:5]
	s_cbranch_execz .LBB56_19
; %bb.18:                               ;   in Loop: Header=BB56_7 Depth=2
	v_ashrrev_i32_e32 v3, 31, v2
	v_lshlrev_b64 v[0:1], 3, v[2:3]
	v_add_co_u32_e64 v0, s[4:5], v25, v0
	v_addc_co_u32_e64 v1, s[4:5], v26, v1, s[4:5]
	global_load_dwordx2 v[0:1], v[0:1], off
.LBB56_19:                              ;   in Loop: Header=BB56_7 Depth=2
	s_or_b64 exec, exec, s[8:9]
	s_waitcnt vmcnt(0)
	ds_write_b64 v22, v[0:1]
	s_waitcnt lgkmcnt(0)
	s_barrier
	s_and_saveexec_b64 s[4:5], s[24:25]
	s_cbranch_execz .LBB56_6
; %bb.20:                               ;   in Loop: Header=BB56_7 Depth=2
	ds_read2_b64 v[0:3], v21 offset1:32
	ds_read_b128 v[4:7], v19
	ds_read_b128 v[28:31], v19 offset:16
	ds_read_b128 v[32:35], v19 offset:32
	;; [unrolled: 1-line block ×3, first 2 shown]
	ds_read2_b64 v[40:43], v21 offset0:64 offset1:96
	s_waitcnt lgkmcnt(4)
	v_mul_f32_e32 v27, v1, v5
	v_fma_f32 v27, v0, v4, -v27
	v_mul_f32_e32 v0, v0, v5
	v_fmac_f32_e32 v0, v1, v4
	v_mul_f32_e32 v4, v3, v7
	v_fma_f32 v4, v2, v6, -v4
	v_mul_f32_e32 v2, v2, v7
	v_add_f32_e32 v0, 0, v0
	v_fmac_f32_e32 v2, v3, v6
	s_waitcnt lgkmcnt(0)
	v_mul_f32_e32 v3, v40, v29
	v_add_f32_e32 v1, 0, v27
	v_add_f32_e32 v0, v0, v2
	v_mul_f32_e32 v2, v41, v29
	v_fmac_f32_e32 v3, v41, v28
	v_add_f32_e32 v1, v1, v4
	v_fma_f32 v2, v40, v28, -v2
	v_add_f32_e32 v5, v0, v3
	v_mul_f32_e32 v0, v43, v31
	v_add_f32_e32 v4, v1, v2
	v_fma_f32 v6, v42, v30, -v0
	ds_read2_b64 v[0:3], v21 offset0:128 offset1:160
	v_mul_f32_e32 v7, v42, v31
	v_add_f32_e32 v4, v4, v6
	v_fmac_f32_e32 v7, v43, v30
	v_add_f32_e32 v5, v5, v7
	s_waitcnt lgkmcnt(0)
	v_mul_f32_e32 v6, v1, v33
	v_fma_f32 v6, v0, v32, -v6
	v_mul_f32_e32 v0, v0, v33
	v_fmac_f32_e32 v0, v1, v32
	v_add_f32_e32 v1, v4, v6
	v_mul_f32_e32 v4, v3, v35
	v_add_f32_e32 v0, v5, v0
	v_fma_f32 v27, v2, v34, -v4
	ds_read2_b64 v[4:7], v21 offset0:192 offset1:224
	v_mul_f32_e32 v2, v2, v35
	v_fmac_f32_e32 v2, v3, v34
	v_add_f32_e32 v0, v0, v2
	v_add_f32_e32 v1, v1, v27
	s_waitcnt lgkmcnt(0)
	v_mul_f32_e32 v3, v4, v37
	v_mul_f32_e32 v2, v5, v37
	v_fmac_f32_e32 v3, v5, v36
	v_fma_f32 v2, v4, v36, -v2
	v_add_f32_e32 v5, v0, v3
	v_mul_f32_e32 v0, v7, v39
	v_add_u32_e32 v36, 0x800, v21
	v_add_f32_e32 v4, v1, v2
	v_fma_f32 v27, v6, v38, -v0
	ds_read2_b64 v[0:3], v36 offset1:32
	ds_read_b128 v[28:31], v19 offset:64
	v_mul_f32_e32 v6, v6, v39
	v_fmac_f32_e32 v6, v7, v38
	v_add_f32_e32 v27, v4, v27
	v_add_f32_e32 v32, v5, v6
	s_waitcnt lgkmcnt(0)
	v_mul_f32_e32 v33, v1, v29
	v_fma_f32 v33, v0, v28, -v33
	v_mul_f32_e32 v0, v0, v29
	v_fmac_f32_e32 v0, v1, v28
	ds_read_b128 v[4:7], v19 offset:80
	v_add_f32_e32 v1, v27, v33
	v_add_f32_e32 v0, v32, v0
	ds_read2_b64 v[32:35], v36 offset0:64 offset1:96
	v_mul_f32_e32 v27, v3, v31
	v_fma_f32 v27, v2, v30, -v27
	v_mul_f32_e32 v2, v2, v31
	v_fmac_f32_e32 v2, v3, v30
	s_waitcnt lgkmcnt(0)
	v_mul_f32_e32 v3, v32, v5
	v_add_f32_e32 v0, v0, v2
	v_mul_f32_e32 v2, v33, v5
	v_fmac_f32_e32 v3, v33, v4
	v_add_f32_e32 v1, v1, v27
	v_fma_f32 v2, v32, v4, -v2
	v_add_f32_e32 v5, v0, v3
	v_mul_f32_e32 v0, v35, v7
	v_add_f32_e32 v4, v1, v2
	v_fma_f32 v27, v34, v6, -v0
	ds_read2_b64 v[0:3], v36 offset0:128 offset1:160
	ds_read_b128 v[28:31], v19 offset:96
	v_mul_f32_e32 v7, v34, v7
	v_fmac_f32_e32 v7, v35, v6
	v_add_f32_e32 v27, v4, v27
	v_add_f32_e32 v32, v5, v7
	s_waitcnt lgkmcnt(0)
	v_mul_f32_e32 v33, v1, v29
	v_fma_f32 v33, v0, v28, -v33
	v_mul_f32_e32 v0, v0, v29
	v_fmac_f32_e32 v0, v1, v28
	ds_read_b128 v[4:7], v19 offset:112
	v_add_f32_e32 v1, v27, v33
	v_add_f32_e32 v0, v32, v0
	ds_read2_b64 v[32:35], v36 offset0:192 offset1:224
	v_mul_f32_e32 v27, v3, v31
	v_fma_f32 v27, v2, v30, -v27
	v_mul_f32_e32 v2, v2, v31
	v_fmac_f32_e32 v2, v3, v30
	s_waitcnt lgkmcnt(0)
	v_mul_f32_e32 v3, v32, v5
	v_add_f32_e32 v0, v0, v2
	v_mul_f32_e32 v2, v33, v5
	v_fmac_f32_e32 v3, v33, v4
	v_add_f32_e32 v1, v1, v27
	v_fma_f32 v2, v32, v4, -v2
	v_add_f32_e32 v5, v0, v3
	v_mul_f32_e32 v0, v35, v7
	v_add_u32_e32 v40, 0x1000, v21
	v_add_f32_e32 v4, v1, v2
	v_fma_f32 v27, v34, v6, -v0
	ds_read2_b64 v[0:3], v40 offset1:32
	ds_read_b128 v[28:31], v19 offset:128
	v_mul_f32_e32 v7, v34, v7
	v_fmac_f32_e32 v7, v35, v6
	ds_read_b128 v[32:35], v19 offset:144
	ds_read2_b64 v[36:39], v40 offset0:64 offset1:96
	s_waitcnt lgkmcnt(2)
	v_mul_f32_e32 v6, v1, v29
	v_add_f32_e32 v4, v4, v27
	v_fma_f32 v6, v0, v28, -v6
	v_mul_f32_e32 v0, v0, v29
	v_fmac_f32_e32 v0, v1, v28
	v_add_f32_e32 v1, v4, v6
	v_mul_f32_e32 v4, v3, v31
	v_add_f32_e32 v5, v5, v7
	v_fma_f32 v4, v2, v30, -v4
	v_mul_f32_e32 v2, v2, v31
	v_add_f32_e32 v0, v5, v0
	v_fmac_f32_e32 v2, v3, v30
	s_waitcnt lgkmcnt(0)
	v_mul_f32_e32 v3, v36, v33
	v_add_f32_e32 v0, v0, v2
	v_mul_f32_e32 v2, v37, v33
	v_fmac_f32_e32 v3, v37, v32
	v_add_f32_e32 v1, v1, v4
	v_fma_f32 v2, v36, v32, -v2
	v_add_f32_e32 v28, v0, v3
	v_mul_f32_e32 v0, v39, v35
	v_add_f32_e32 v27, v1, v2
	v_fma_f32 v29, v38, v34, -v0
	ds_read2_b64 v[0:3], v40 offset0:128 offset1:160
	ds_read_b128 v[4:7], v19 offset:160
	global_load_dwordx2 v[36:37], v[12:13], off
	v_mul_f32_e32 v30, v38, v35
	v_fmac_f32_e32 v30, v39, v34
	v_add_f32_e32 v27, v27, v29
	s_waitcnt lgkmcnt(0)
	v_mul_f32_e32 v33, v1, v5
	v_fma_f32 v33, v0, v4, -v33
	v_mul_f32_e32 v0, v0, v5
	v_add_f32_e32 v32, v28, v30
	v_fmac_f32_e32 v0, v1, v4
	ds_read_b128 v[28:31], v19 offset:176
	v_add_f32_e32 v1, v27, v33
	v_add_f32_e32 v0, v32, v0
	ds_read2_b64 v[32:35], v40 offset0:192 offset1:224
	v_mul_f32_e32 v4, v3, v7
	v_fma_f32 v4, v2, v6, -v4
	v_mul_f32_e32 v2, v2, v7
	v_fmac_f32_e32 v2, v3, v6
	s_waitcnt lgkmcnt(0)
	v_mul_f32_e32 v3, v32, v29
	v_add_f32_e32 v0, v0, v2
	v_mul_f32_e32 v2, v33, v29
	v_fmac_f32_e32 v3, v33, v28
	v_add_f32_e32 v1, v1, v4
	v_fma_f32 v2, v32, v28, -v2
	v_add_f32_e32 v28, v0, v3
	v_mul_f32_e32 v0, v35, v31
	v_add_u32_e32 v38, 0x1800, v21
	v_add_f32_e32 v27, v1, v2
	v_fma_f32 v29, v34, v30, -v0
	ds_read2_b64 v[0:3], v38 offset1:32
	ds_read_b128 v[4:7], v19 offset:192
	v_mul_f32_e32 v31, v34, v31
	v_fmac_f32_e32 v31, v35, v30
	v_add_f32_e32 v27, v27, v29
	v_add_f32_e32 v32, v28, v31
	s_waitcnt lgkmcnt(0)
	v_mul_f32_e32 v33, v1, v5
	v_fma_f32 v33, v0, v4, -v33
	v_mul_f32_e32 v0, v0, v5
	v_fmac_f32_e32 v0, v1, v4
	ds_read_b128 v[28:31], v19 offset:208
	v_add_f32_e32 v1, v27, v33
	v_add_f32_e32 v0, v32, v0
	ds_read2_b64 v[32:35], v38 offset0:64 offset1:96
	v_mul_f32_e32 v4, v3, v7
	v_fma_f32 v4, v2, v6, -v4
	v_mul_f32_e32 v2, v2, v7
	v_fmac_f32_e32 v2, v3, v6
	s_waitcnt lgkmcnt(0)
	v_mul_f32_e32 v3, v32, v29
	v_add_f32_e32 v0, v0, v2
	v_mul_f32_e32 v2, v33, v29
	v_fmac_f32_e32 v3, v33, v28
	v_add_f32_e32 v1, v1, v4
	v_fma_f32 v2, v32, v28, -v2
	v_add_f32_e32 v28, v0, v3
	v_mul_f32_e32 v0, v35, v31
	v_add_f32_e32 v27, v1, v2
	v_fma_f32 v29, v34, v30, -v0
	ds_read2_b64 v[0:3], v38 offset0:128 offset1:160
	ds_read_b128 v[4:7], v19 offset:224
	v_mul_f32_e32 v31, v34, v31
	v_fmac_f32_e32 v31, v35, v30
	v_add_f32_e32 v27, v27, v29
	v_add_f32_e32 v32, v28, v31
	s_waitcnt lgkmcnt(0)
	v_mul_f32_e32 v33, v1, v5
	v_fma_f32 v33, v0, v4, -v33
	v_mul_f32_e32 v0, v0, v5
	v_fmac_f32_e32 v0, v1, v4
	ds_read_b128 v[28:31], v19 offset:240
	v_add_f32_e32 v1, v27, v33
	v_add_f32_e32 v0, v32, v0
	ds_read2_b64 v[32:35], v38 offset0:192 offset1:224
	v_mul_f32_e32 v4, v3, v7
	v_fma_f32 v4, v2, v6, -v4
	v_mul_f32_e32 v2, v2, v7
	v_fmac_f32_e32 v2, v3, v6
	v_add_f32_e32 v0, v0, v2
	s_waitcnt lgkmcnt(0)
	v_mul_f32_e32 v2, v33, v29
	v_mul_f32_e32 v3, v32, v29
	v_add_f32_e32 v1, v1, v4
	v_fma_f32 v2, v32, v28, -v2
	v_fmac_f32_e32 v3, v33, v28
	v_add_f32_e32 v1, v1, v2
	v_add_f32_e32 v2, v0, v3
	v_mul_f32_e32 v3, v34, v31
	v_mul_f32_e32 v0, v35, v31
	v_fmac_f32_e32 v3, v35, v30
	v_fma_f32 v0, v34, v30, -v0
	v_add_f32_e32 v2, v2, v3
	v_add_f32_e32 v0, v1, v0
	v_pk_mul_f32 v[2:3], s[10:11], v[2:3] op_sel_hi:[1,0]
	v_pk_fma_f32 v[4:5], s[10:11], v[0:1], v[2:3] op_sel:[0,0,1] op_sel_hi:[1,1,0] neg_lo:[0,0,1] neg_hi:[0,0,1]
	v_pk_fma_f32 v[0:1], s[10:11], v[0:1], v[2:3] op_sel:[0,0,1] op_sel_hi:[1,0,0]
	v_mov_b32_e32 v5, v1
	s_waitcnt vmcnt(0)
	v_pk_add_f32 v[0:1], v[36:37], v[4:5]
	global_store_dwordx2 v[12:13], v[0:1], off
	s_branch .LBB56_6
.LBB56_21:
	s_endpgm
	.section	.rodata,"a",@progbits
	.p2align	6, 0x0
	.amdhsa_kernel _ZL24rocblas_symm_hemm_kernelILb1ELb0ELi32EPK19rocblas_complex_numIfEPKS3_PKPS1_EvbiiT2_T3_lllSA_lllT4_llli
		.amdhsa_group_segment_fixed_size 16384
		.amdhsa_private_segment_fixed_size 0
		.amdhsa_kernarg_size 384
		.amdhsa_user_sgpr_count 6
		.amdhsa_user_sgpr_private_segment_buffer 1
		.amdhsa_user_sgpr_dispatch_ptr 0
		.amdhsa_user_sgpr_queue_ptr 0
		.amdhsa_user_sgpr_kernarg_segment_ptr 1
		.amdhsa_user_sgpr_dispatch_id 0
		.amdhsa_user_sgpr_flat_scratch_init 0
		.amdhsa_user_sgpr_kernarg_preload_length 0
		.amdhsa_user_sgpr_kernarg_preload_offset 0
		.amdhsa_user_sgpr_private_segment_size 0
		.amdhsa_uses_dynamic_stack 0
		.amdhsa_system_sgpr_private_segment_wavefront_offset 0
		.amdhsa_system_sgpr_workgroup_id_x 1
		.amdhsa_system_sgpr_workgroup_id_y 1
		.amdhsa_system_sgpr_workgroup_id_z 1
		.amdhsa_system_sgpr_workgroup_info 0
		.amdhsa_system_vgpr_workitem_id 1
		.amdhsa_next_free_vgpr 44
		.amdhsa_next_free_sgpr 32
		.amdhsa_accum_offset 44
		.amdhsa_reserve_vcc 1
		.amdhsa_reserve_flat_scratch 0
		.amdhsa_float_round_mode_32 0
		.amdhsa_float_round_mode_16_64 0
		.amdhsa_float_denorm_mode_32 3
		.amdhsa_float_denorm_mode_16_64 3
		.amdhsa_dx10_clamp 1
		.amdhsa_ieee_mode 1
		.amdhsa_fp16_overflow 0
		.amdhsa_tg_split 0
		.amdhsa_exception_fp_ieee_invalid_op 0
		.amdhsa_exception_fp_denorm_src 0
		.amdhsa_exception_fp_ieee_div_zero 0
		.amdhsa_exception_fp_ieee_overflow 0
		.amdhsa_exception_fp_ieee_underflow 0
		.amdhsa_exception_fp_ieee_inexact 0
		.amdhsa_exception_int_div_zero 0
	.end_amdhsa_kernel
	.section	.text._ZL24rocblas_symm_hemm_kernelILb1ELb0ELi32EPK19rocblas_complex_numIfEPKS3_PKPS1_EvbiiT2_T3_lllSA_lllT4_llli,"axG",@progbits,_ZL24rocblas_symm_hemm_kernelILb1ELb0ELi32EPK19rocblas_complex_numIfEPKS3_PKPS1_EvbiiT2_T3_lllSA_lllT4_llli,comdat
.Lfunc_end56:
	.size	_ZL24rocblas_symm_hemm_kernelILb1ELb0ELi32EPK19rocblas_complex_numIfEPKS3_PKPS1_EvbiiT2_T3_lllSA_lllT4_llli, .Lfunc_end56-_ZL24rocblas_symm_hemm_kernelILb1ELb0ELi32EPK19rocblas_complex_numIfEPKS3_PKPS1_EvbiiT2_T3_lllSA_lllT4_llli
                                        ; -- End function
	.section	.AMDGPU.csdata,"",@progbits
; Kernel info:
; codeLenInByte = 2288
; NumSgprs: 36
; NumVgprs: 44
; NumAgprs: 0
; TotalNumVgprs: 44
; ScratchSize: 0
; MemoryBound: 0
; FloatMode: 240
; IeeeMode: 1
; LDSByteSize: 16384 bytes/workgroup (compile time only)
; SGPRBlocks: 4
; VGPRBlocks: 5
; NumSGPRsForWavesPerEU: 36
; NumVGPRsForWavesPerEU: 44
; AccumOffset: 44
; Occupancy: 8
; WaveLimiterHint : 1
; COMPUTE_PGM_RSRC2:SCRATCH_EN: 0
; COMPUTE_PGM_RSRC2:USER_SGPR: 6
; COMPUTE_PGM_RSRC2:TRAP_HANDLER: 0
; COMPUTE_PGM_RSRC2:TGID_X_EN: 1
; COMPUTE_PGM_RSRC2:TGID_Y_EN: 1
; COMPUTE_PGM_RSRC2:TGID_Z_EN: 1
; COMPUTE_PGM_RSRC2:TIDIG_COMP_CNT: 1
; COMPUTE_PGM_RSRC3_GFX90A:ACCUM_OFFSET: 10
; COMPUTE_PGM_RSRC3_GFX90A:TG_SPLIT: 0
	.section	.text._ZL24rocblas_symm_hemm_kernelILb1ELb1ELi32EPK19rocblas_complex_numIfEPKS3_PKPS1_EvbiiT2_T3_lllSA_lllT4_llli,"axG",@progbits,_ZL24rocblas_symm_hemm_kernelILb1ELb1ELi32EPK19rocblas_complex_numIfEPKS3_PKPS1_EvbiiT2_T3_lllSA_lllT4_llli,comdat
	.globl	_ZL24rocblas_symm_hemm_kernelILb1ELb1ELi32EPK19rocblas_complex_numIfEPKS3_PKPS1_EvbiiT2_T3_lllSA_lllT4_llli ; -- Begin function _ZL24rocblas_symm_hemm_kernelILb1ELb1ELi32EPK19rocblas_complex_numIfEPKS3_PKPS1_EvbiiT2_T3_lllSA_lllT4_llli
	.p2align	8
	.type	_ZL24rocblas_symm_hemm_kernelILb1ELb1ELi32EPK19rocblas_complex_numIfEPKS3_PKPS1_EvbiiT2_T3_lllSA_lllT4_llli,@function
_ZL24rocblas_symm_hemm_kernelILb1ELb1ELi32EPK19rocblas_complex_numIfEPKS3_PKPS1_EvbiiT2_T3_lllSA_lllT4_llli: ; @_ZL24rocblas_symm_hemm_kernelILb1ELb1ELi32EPK19rocblas_complex_numIfEPKS3_PKPS1_EvbiiT2_T3_lllSA_lllT4_llli
; %bb.0:
	s_load_dwordx8 s[12:19], s[4:5], 0x10
	s_waitcnt lgkmcnt(0)
	s_load_dwordx2 s[10:11], s[12:13], 0x0
	s_waitcnt lgkmcnt(0)
	v_cmp_eq_f32_e64 s[0:1], s10, 0
	v_cmp_eq_f32_e64 s[2:3], s11, 0
	s_and_b64 s[0:1], s[0:1], s[2:3]
	s_and_b64 vcc, exec, s[0:1]
	s_cbranch_vccnz .LBB57_21
; %bb.1:
	s_load_dwordx4 s[20:23], s[4:5], 0x0
	s_waitcnt lgkmcnt(0)
	s_add_i32 s0, s22, -1
	s_ashr_i32 s1, s0, 31
	s_lshr_b32 s1, s1, 27
	s_add_i32 s0, s0, s1
	s_ashr_i32 s23, s0, 5
	s_cmp_gt_i32 s7, s23
	s_cbranch_scc1 .LBB57_21
; %bb.2:
	s_mov_b32 s9, 0
	s_lshl_b64 s[8:9], s[8:9], 3
	s_add_u32 s24, s14, s8
	s_addc_u32 s25, s15, s9
	s_load_dwordx2 s[26:27], s[24:25], 0x0
	s_load_dwordx4 s[0:3], s[4:5], 0x38
	s_load_dwordx2 s[12:13], s[4:5], 0x48
	s_load_dwordx4 s[28:31], s[4:5], 0x58
	s_load_dwordx2 s[14:15], s[4:5], 0x68
	s_lshl_b64 s[16:17], s[16:17], 3
	s_waitcnt lgkmcnt(0)
	s_add_u32 s26, s26, s16
	s_addc_u32 s27, s27, s17
	s_add_u32 s0, s0, s8
	s_addc_u32 s1, s1, s9
	s_add_u32 s8, s28, s8
	s_addc_u32 s9, s29, s9
	s_load_dwordx2 s[16:17], s[8:9], 0x0
	s_load_dwordx2 s[24:25], s[0:1], 0x0
	s_bitcmp1_b32 s20, 0
	s_cselect_b64 s[0:1], -1, 0
	s_lshl_b64 s[8:9], s[30:31], 3
	s_waitcnt lgkmcnt(0)
	s_add_u32 s8, s16, s8
	v_and_b32_e32 v14, 0x3ff, v0
	s_addc_u32 s9, s17, s9
	s_lshl_b64 s[2:3], s[2:3], 3
	v_lshl_add_u32 v2, s6, 5, v14
	s_add_u32 s16, s24, s2
	v_ashrrev_i32_e32 v3, 31, v2
	s_addc_u32 s17, s25, s3
	v_bfe_u32 v15, v0, 10, 10
	v_lshlrev_b64 v[0:1], 3, v[2:3]
	s_load_dword s6, s[4:5], 0x84
	v_cmp_gt_i32_e64 s[2:3], s21, v2
	v_mov_b32_e32 v2, s17
	v_add_co_u32_e32 v16, vcc, s16, v0
	s_cmp_gt_i32 s22, 0
	v_addc_co_u32_e32 v17, vcc, v2, v1, vcc
	v_lshlrev_b32_e32 v2, 3, v15
	v_lshlrev_b32_e32 v18, 8, v14
	v_add_co_u32_e32 v22, vcc, s8, v0
	v_lshl_add_u32 v0, s7, 5, v15
	s_cselect_b64 s[4:5], -1, 0
	v_add_u32_e32 v19, v18, v2
	v_or_b32_e32 v20, 0x2000, v2
	v_mov_b32_e32 v2, s9
	v_sub_u32_e32 v24, 0, v0
	v_cndmask_b32_e64 v0, 0, 1, s[4:5]
	v_add_u32_e32 v21, v20, v18
	v_addc_co_u32_e32 v23, vcc, v2, v1, vcc
	s_waitcnt lgkmcnt(0)
	s_lshl_b32 s28, s6, 5
	v_cmp_ne_u32_e64 s[4:5], 1, v0
	s_branch .LBB57_4
.LBB57_3:                               ;   in Loop: Header=BB57_4 Depth=1
	s_add_i32 s7, s7, s6
	s_cmp_gt_i32 s7, s23
	v_subrev_u32_e32 v24, s28, v24
	s_cbranch_scc1 .LBB57_21
.LBB57_4:                               ; =>This Loop Header: Depth=1
                                        ;     Child Loop BB57_7 Depth 2
	s_and_b64 vcc, exec, s[4:5]
	s_cbranch_vccnz .LBB57_3
; %bb.5:                                ;   in Loop: Header=BB57_4 Depth=1
	v_lshl_add_u32 v8, s7, 5, v15
	v_ashrrev_i32_e32 v9, 31, v8
	v_mul_lo_u32 v2, v9, s18
	v_mul_lo_u32 v3, v8, s19
	v_mad_u64_u32 v[0:1], s[8:9], v8, s18, 0
	v_add3_u32 v1, v1, v3, v2
	v_lshlrev_b64 v[0:1], 3, v[0:1]
	v_mov_b32_e32 v2, s27
	v_add_co_u32_e32 v25, vcc, s26, v0
	v_addc_co_u32_e32 v26, vcc, v2, v1, vcc
	v_lshlrev_b64 v[0:1], 3, v[8:9]
	v_add_co_u32_e32 v27, vcc, s26, v0
	v_addc_co_u32_e32 v28, vcc, v2, v1, vcc
	v_mul_lo_u32 v4, v9, s14
	v_mul_lo_u32 v5, v8, s15
	v_mad_u64_u32 v[2:3], s[8:9], v8, s14, 0
	v_add3_u32 v3, v3, v5, v4
	v_cmp_gt_i32_e32 vcc, s22, v8
	v_lshlrev_b64 v[2:3], 3, v[2:3]
	s_and_b64 s[16:17], s[2:3], vcc
	v_add_co_u32_e32 v10, vcc, v22, v2
	v_addc_co_u32_e32 v11, vcc, v23, v3, vcc
	v_add_co_u32_e32 v12, vcc, v25, v0
	v_addc_co_u32_e32 v13, vcc, v26, v1, vcc
	v_add_u32_e32 v9, v14, v24
	s_mov_b32 s29, 0
	s_branch .LBB57_7
.LBB57_6:                               ;   in Loop: Header=BB57_7 Depth=2
	s_or_b64 exec, exec, s[8:9]
	s_add_i32 s29, s29, 32
	s_cmp_ge_i32 s29, s22
	s_barrier
	s_cbranch_scc1 .LBB57_3
.LBB57_7:                               ;   Parent Loop BB57_4 Depth=1
                                        ; =>  This Inner Loop Header: Depth=2
	v_add_u32_e32 v1, s29, v15
	v_cmp_gt_i32_e32 vcc, s22, v1
	s_and_b64 s[20:21], s[2:3], vcc
	v_mov_b32_e32 v0, 0
	v_mov_b32_e32 v2, 0
	;; [unrolled: 1-line block ×3, first 2 shown]
	s_and_saveexec_b64 s[8:9], s[20:21]
	s_cbranch_execz .LBB57_9
; %bb.8:                                ;   in Loop: Header=BB57_7 Depth=2
	v_ashrrev_i32_e32 v2, 31, v1
	v_mul_lo_u32 v4, v1, s13
	v_mul_lo_u32 v5, v2, s12
	v_mad_u64_u32 v[2:3], s[20:21], v1, s12, 0
	v_add3_u32 v3, v3, v4, v5
	v_lshlrev_b64 v[2:3], 3, v[2:3]
	v_add_co_u32_e32 v2, vcc, v16, v2
	v_addc_co_u32_e32 v3, vcc, v17, v3, vcc
	global_load_dwordx2 v[2:3], v[2:3], off
.LBB57_9:                               ;   in Loop: Header=BB57_7 Depth=2
	s_or_b64 exec, exec, s[8:9]
	s_waitcnt vmcnt(0)
	ds_write_b64 v19, v[2:3]
	v_add_u32_e32 v2, s29, v14
	v_cndmask_b32_e64 v1, v8, v2, s[0:1]
	v_cndmask_b32_e64 v3, v2, v8, s[0:1]
	v_cmp_gt_i32_e64 s[8:9], v1, v3
	v_cmp_le_i32_e32 vcc, v1, v3
	v_cndmask_b32_e64 v1, v2, v8, s[8:9]
	v_cndmask_b32_e64 v3, v8, v2, s[8:9]
	v_max_i32_e32 v1, v1, v3
	v_cmp_gt_i32_e64 s[8:9], s22, v1
	v_mov_b32_e32 v1, 0
	s_and_saveexec_b64 s[20:21], s[8:9]
	s_cbranch_execz .LBB57_19
; %bb.10:                               ;   in Loop: Header=BB57_7 Depth=2
                                        ; implicit-def: $vgpr1
	s_and_saveexec_b64 s[8:9], vcc
	s_xor_b64 s[8:9], exec, s[8:9]
	s_cbranch_execz .LBB57_16
; %bb.11:                               ;   in Loop: Header=BB57_7 Depth=2
	v_add_u32_e32 v0, s29, v9
	v_cmp_ne_u32_e32 vcc, 0, v0
                                        ; implicit-def: $vgpr1
	s_and_saveexec_b64 s[24:25], vcc
	s_xor_b64 s[24:25], exec, s[24:25]
	s_cbranch_execz .LBB57_13
; %bb.12:                               ;   in Loop: Header=BB57_7 Depth=2
	v_ashrrev_i32_e32 v3, 31, v2
	v_lshlrev_b64 v[0:1], 3, v[2:3]
	v_add_co_u32_e32 v0, vcc, v25, v0
	v_addc_co_u32_e32 v1, vcc, v26, v1, vcc
	global_load_dwordx2 v[0:1], v[0:1], off
.LBB57_13:                              ;   in Loop: Header=BB57_7 Depth=2
	s_andn2_saveexec_b64 s[24:25], s[24:25]
	s_cbranch_execz .LBB57_15
; %bb.14:                               ;   in Loop: Header=BB57_7 Depth=2
	global_load_dword v0, v[12:13], off
	s_waitcnt vmcnt(1)
	v_mov_b32_e32 v1, 0
.LBB57_15:                              ;   in Loop: Header=BB57_7 Depth=2
	s_or_b64 exec, exec, s[24:25]
                                        ; implicit-def: $vgpr2
.LBB57_16:                              ;   in Loop: Header=BB57_7 Depth=2
	s_andn2_saveexec_b64 s[8:9], s[8:9]
	s_cbranch_execz .LBB57_18
; %bb.17:                               ;   in Loop: Header=BB57_7 Depth=2
	s_waitcnt vmcnt(0)
	v_ashrrev_i32_e32 v0, 31, v2
	v_mul_lo_u32 v3, v2, s19
	v_mul_lo_u32 v4, v0, s18
	v_mad_u64_u32 v[0:1], s[24:25], v2, s18, 0
	v_add3_u32 v1, v1, v3, v4
	v_lshlrev_b64 v[0:1], 3, v[0:1]
	v_add_co_u32_e32 v0, vcc, v27, v0
	v_addc_co_u32_e32 v1, vcc, v28, v1, vcc
	global_load_dwordx2 v[0:1], v[0:1], off
	s_waitcnt vmcnt(0)
	v_xor_b32_e32 v1, 0x80000000, v1
.LBB57_18:                              ;   in Loop: Header=BB57_7 Depth=2
	s_or_b64 exec, exec, s[8:9]
.LBB57_19:                              ;   in Loop: Header=BB57_7 Depth=2
	s_or_b64 exec, exec, s[20:21]
	s_waitcnt vmcnt(0)
	ds_write_b64 v21, v[0:1]
	s_waitcnt lgkmcnt(0)
	s_barrier
	s_and_saveexec_b64 s[8:9], s[16:17]
	s_cbranch_execz .LBB57_6
; %bb.20:                               ;   in Loop: Header=BB57_7 Depth=2
	ds_read2_b64 v[0:3], v20 offset1:32
	ds_read_b128 v[4:7], v18
	ds_read_b128 v[30:33], v18 offset:16
	ds_read_b128 v[34:37], v18 offset:32
	;; [unrolled: 1-line block ×3, first 2 shown]
	ds_read2_b64 v[42:45], v20 offset0:64 offset1:96
	s_waitcnt lgkmcnt(4)
	v_mul_f32_e32 v29, v1, v5
	v_fma_f32 v29, v0, v4, -v29
	v_mul_f32_e32 v0, v0, v5
	v_fmac_f32_e32 v0, v1, v4
	v_mul_f32_e32 v4, v3, v7
	v_fma_f32 v4, v2, v6, -v4
	v_mul_f32_e32 v2, v2, v7
	v_add_f32_e32 v0, 0, v0
	v_fmac_f32_e32 v2, v3, v6
	s_waitcnt lgkmcnt(0)
	v_mul_f32_e32 v3, v42, v31
	v_add_f32_e32 v1, 0, v29
	v_add_f32_e32 v0, v0, v2
	v_mul_f32_e32 v2, v43, v31
	v_fmac_f32_e32 v3, v43, v30
	v_add_f32_e32 v1, v1, v4
	v_fma_f32 v2, v42, v30, -v2
	v_add_f32_e32 v5, v0, v3
	v_mul_f32_e32 v0, v45, v33
	v_add_f32_e32 v4, v1, v2
	v_fma_f32 v6, v44, v32, -v0
	ds_read2_b64 v[0:3], v20 offset0:128 offset1:160
	v_mul_f32_e32 v7, v44, v33
	v_add_f32_e32 v4, v4, v6
	v_fmac_f32_e32 v7, v45, v32
	v_add_f32_e32 v5, v5, v7
	s_waitcnt lgkmcnt(0)
	v_mul_f32_e32 v6, v1, v35
	v_fma_f32 v6, v0, v34, -v6
	v_mul_f32_e32 v0, v0, v35
	v_fmac_f32_e32 v0, v1, v34
	v_add_f32_e32 v1, v4, v6
	v_mul_f32_e32 v4, v3, v37
	v_add_f32_e32 v0, v5, v0
	v_fma_f32 v29, v2, v36, -v4
	ds_read2_b64 v[4:7], v20 offset0:192 offset1:224
	v_mul_f32_e32 v2, v2, v37
	v_fmac_f32_e32 v2, v3, v36
	v_add_f32_e32 v0, v0, v2
	v_add_f32_e32 v1, v1, v29
	s_waitcnt lgkmcnt(0)
	v_mul_f32_e32 v3, v4, v39
	v_mul_f32_e32 v2, v5, v39
	v_fmac_f32_e32 v3, v5, v38
	v_fma_f32 v2, v4, v38, -v2
	v_add_f32_e32 v5, v0, v3
	v_mul_f32_e32 v0, v7, v41
	v_add_u32_e32 v38, 0x800, v20
	v_add_f32_e32 v4, v1, v2
	v_fma_f32 v29, v6, v40, -v0
	ds_read2_b64 v[0:3], v38 offset1:32
	ds_read_b128 v[30:33], v18 offset:64
	v_mul_f32_e32 v6, v6, v41
	v_fmac_f32_e32 v6, v7, v40
	v_add_f32_e32 v29, v4, v29
	v_add_f32_e32 v34, v5, v6
	s_waitcnt lgkmcnt(0)
	v_mul_f32_e32 v35, v1, v31
	v_fma_f32 v35, v0, v30, -v35
	v_mul_f32_e32 v0, v0, v31
	v_fmac_f32_e32 v0, v1, v30
	ds_read_b128 v[4:7], v18 offset:80
	v_add_f32_e32 v1, v29, v35
	v_add_f32_e32 v0, v34, v0
	ds_read2_b64 v[34:37], v38 offset0:64 offset1:96
	v_mul_f32_e32 v29, v3, v33
	v_fma_f32 v29, v2, v32, -v29
	v_mul_f32_e32 v2, v2, v33
	v_fmac_f32_e32 v2, v3, v32
	s_waitcnt lgkmcnt(0)
	v_mul_f32_e32 v3, v34, v5
	v_add_f32_e32 v0, v0, v2
	v_mul_f32_e32 v2, v35, v5
	v_fmac_f32_e32 v3, v35, v4
	v_add_f32_e32 v1, v1, v29
	v_fma_f32 v2, v34, v4, -v2
	v_add_f32_e32 v5, v0, v3
	v_mul_f32_e32 v0, v37, v7
	v_add_f32_e32 v4, v1, v2
	v_fma_f32 v29, v36, v6, -v0
	ds_read2_b64 v[0:3], v38 offset0:128 offset1:160
	ds_read_b128 v[30:33], v18 offset:96
	v_mul_f32_e32 v7, v36, v7
	v_fmac_f32_e32 v7, v37, v6
	v_add_f32_e32 v29, v4, v29
	v_add_f32_e32 v34, v5, v7
	s_waitcnt lgkmcnt(0)
	v_mul_f32_e32 v35, v1, v31
	v_fma_f32 v35, v0, v30, -v35
	v_mul_f32_e32 v0, v0, v31
	v_fmac_f32_e32 v0, v1, v30
	ds_read_b128 v[4:7], v18 offset:112
	v_add_f32_e32 v1, v29, v35
	v_add_f32_e32 v0, v34, v0
	ds_read2_b64 v[34:37], v38 offset0:192 offset1:224
	v_mul_f32_e32 v29, v3, v33
	v_fma_f32 v29, v2, v32, -v29
	v_mul_f32_e32 v2, v2, v33
	v_fmac_f32_e32 v2, v3, v32
	s_waitcnt lgkmcnt(0)
	v_mul_f32_e32 v3, v34, v5
	v_add_f32_e32 v0, v0, v2
	v_mul_f32_e32 v2, v35, v5
	v_fmac_f32_e32 v3, v35, v4
	v_add_f32_e32 v1, v1, v29
	v_fma_f32 v2, v34, v4, -v2
	v_add_f32_e32 v5, v0, v3
	v_mul_f32_e32 v0, v37, v7
	v_add_u32_e32 v42, 0x1000, v20
	v_add_f32_e32 v4, v1, v2
	v_fma_f32 v29, v36, v6, -v0
	ds_read2_b64 v[0:3], v42 offset1:32
	ds_read_b128 v[30:33], v18 offset:128
	v_mul_f32_e32 v7, v36, v7
	v_fmac_f32_e32 v7, v37, v6
	ds_read_b128 v[34:37], v18 offset:144
	ds_read2_b64 v[38:41], v42 offset0:64 offset1:96
	s_waitcnt lgkmcnt(2)
	v_mul_f32_e32 v6, v1, v31
	v_add_f32_e32 v4, v4, v29
	v_fma_f32 v6, v0, v30, -v6
	v_mul_f32_e32 v0, v0, v31
	v_fmac_f32_e32 v0, v1, v30
	v_add_f32_e32 v1, v4, v6
	v_mul_f32_e32 v4, v3, v33
	v_add_f32_e32 v5, v5, v7
	v_fma_f32 v4, v2, v32, -v4
	v_mul_f32_e32 v2, v2, v33
	v_add_f32_e32 v0, v5, v0
	v_fmac_f32_e32 v2, v3, v32
	s_waitcnt lgkmcnt(0)
	v_mul_f32_e32 v3, v38, v35
	v_add_f32_e32 v0, v0, v2
	v_mul_f32_e32 v2, v39, v35
	v_fmac_f32_e32 v3, v39, v34
	v_add_f32_e32 v1, v1, v4
	v_fma_f32 v2, v38, v34, -v2
	v_add_f32_e32 v30, v0, v3
	v_mul_f32_e32 v0, v41, v37
	v_add_f32_e32 v29, v1, v2
	v_fma_f32 v31, v40, v36, -v0
	ds_read2_b64 v[0:3], v42 offset0:128 offset1:160
	ds_read_b128 v[4:7], v18 offset:160
	global_load_dwordx2 v[38:39], v[10:11], off
	v_mul_f32_e32 v32, v40, v37
	v_fmac_f32_e32 v32, v41, v36
	v_add_f32_e32 v29, v29, v31
	s_waitcnt lgkmcnt(0)
	v_mul_f32_e32 v35, v1, v5
	v_fma_f32 v35, v0, v4, -v35
	v_mul_f32_e32 v0, v0, v5
	v_add_f32_e32 v34, v30, v32
	v_fmac_f32_e32 v0, v1, v4
	ds_read_b128 v[30:33], v18 offset:176
	v_add_f32_e32 v1, v29, v35
	v_add_f32_e32 v0, v34, v0
	ds_read2_b64 v[34:37], v42 offset0:192 offset1:224
	v_mul_f32_e32 v4, v3, v7
	v_fma_f32 v4, v2, v6, -v4
	v_mul_f32_e32 v2, v2, v7
	v_fmac_f32_e32 v2, v3, v6
	s_waitcnt lgkmcnt(0)
	v_mul_f32_e32 v3, v34, v31
	v_add_f32_e32 v0, v0, v2
	v_mul_f32_e32 v2, v35, v31
	v_fmac_f32_e32 v3, v35, v30
	v_add_f32_e32 v1, v1, v4
	v_fma_f32 v2, v34, v30, -v2
	v_add_f32_e32 v30, v0, v3
	v_mul_f32_e32 v0, v37, v33
	v_add_u32_e32 v40, 0x1800, v20
	v_add_f32_e32 v29, v1, v2
	v_fma_f32 v31, v36, v32, -v0
	ds_read2_b64 v[0:3], v40 offset1:32
	ds_read_b128 v[4:7], v18 offset:192
	v_mul_f32_e32 v33, v36, v33
	v_fmac_f32_e32 v33, v37, v32
	v_add_f32_e32 v29, v29, v31
	v_add_f32_e32 v34, v30, v33
	s_waitcnt lgkmcnt(0)
	v_mul_f32_e32 v35, v1, v5
	v_fma_f32 v35, v0, v4, -v35
	v_mul_f32_e32 v0, v0, v5
	v_fmac_f32_e32 v0, v1, v4
	ds_read_b128 v[30:33], v18 offset:208
	v_add_f32_e32 v1, v29, v35
	v_add_f32_e32 v0, v34, v0
	ds_read2_b64 v[34:37], v40 offset0:64 offset1:96
	v_mul_f32_e32 v4, v3, v7
	v_fma_f32 v4, v2, v6, -v4
	v_mul_f32_e32 v2, v2, v7
	v_fmac_f32_e32 v2, v3, v6
	s_waitcnt lgkmcnt(0)
	v_mul_f32_e32 v3, v34, v31
	v_add_f32_e32 v0, v0, v2
	v_mul_f32_e32 v2, v35, v31
	v_fmac_f32_e32 v3, v35, v30
	v_add_f32_e32 v1, v1, v4
	v_fma_f32 v2, v34, v30, -v2
	v_add_f32_e32 v30, v0, v3
	v_mul_f32_e32 v0, v37, v33
	v_add_f32_e32 v29, v1, v2
	v_fma_f32 v31, v36, v32, -v0
	ds_read2_b64 v[0:3], v40 offset0:128 offset1:160
	ds_read_b128 v[4:7], v18 offset:224
	v_mul_f32_e32 v33, v36, v33
	v_fmac_f32_e32 v33, v37, v32
	v_add_f32_e32 v29, v29, v31
	v_add_f32_e32 v34, v30, v33
	s_waitcnt lgkmcnt(0)
	v_mul_f32_e32 v35, v1, v5
	v_fma_f32 v35, v0, v4, -v35
	v_mul_f32_e32 v0, v0, v5
	v_fmac_f32_e32 v0, v1, v4
	ds_read_b128 v[30:33], v18 offset:240
	v_add_f32_e32 v1, v29, v35
	v_add_f32_e32 v0, v34, v0
	ds_read2_b64 v[34:37], v40 offset0:192 offset1:224
	v_mul_f32_e32 v4, v3, v7
	v_fma_f32 v4, v2, v6, -v4
	v_mul_f32_e32 v2, v2, v7
	v_fmac_f32_e32 v2, v3, v6
	v_add_f32_e32 v0, v0, v2
	s_waitcnt lgkmcnt(0)
	v_mul_f32_e32 v2, v35, v31
	v_mul_f32_e32 v3, v34, v31
	v_add_f32_e32 v1, v1, v4
	v_fma_f32 v2, v34, v30, -v2
	v_fmac_f32_e32 v3, v35, v30
	v_add_f32_e32 v1, v1, v2
	v_add_f32_e32 v2, v0, v3
	v_mul_f32_e32 v3, v36, v33
	v_mul_f32_e32 v0, v37, v33
	v_fmac_f32_e32 v3, v37, v32
	v_fma_f32 v0, v36, v32, -v0
	v_add_f32_e32 v2, v2, v3
	v_add_f32_e32 v0, v1, v0
	v_pk_mul_f32 v[2:3], s[10:11], v[2:3] op_sel_hi:[1,0]
	v_pk_fma_f32 v[4:5], s[10:11], v[0:1], v[2:3] op_sel:[0,0,1] op_sel_hi:[1,1,0] neg_lo:[0,0,1] neg_hi:[0,0,1]
	v_pk_fma_f32 v[0:1], s[10:11], v[0:1], v[2:3] op_sel:[0,0,1] op_sel_hi:[1,0,0]
	v_mov_b32_e32 v5, v1
	s_waitcnt vmcnt(0)
	v_pk_add_f32 v[0:1], v[38:39], v[4:5]
	global_store_dwordx2 v[10:11], v[0:1], off
	s_branch .LBB57_6
.LBB57_21:
	s_endpgm
	.section	.rodata,"a",@progbits
	.p2align	6, 0x0
	.amdhsa_kernel _ZL24rocblas_symm_hemm_kernelILb1ELb1ELi32EPK19rocblas_complex_numIfEPKS3_PKPS1_EvbiiT2_T3_lllSA_lllT4_llli
		.amdhsa_group_segment_fixed_size 16384
		.amdhsa_private_segment_fixed_size 0
		.amdhsa_kernarg_size 384
		.amdhsa_user_sgpr_count 6
		.amdhsa_user_sgpr_private_segment_buffer 1
		.amdhsa_user_sgpr_dispatch_ptr 0
		.amdhsa_user_sgpr_queue_ptr 0
		.amdhsa_user_sgpr_kernarg_segment_ptr 1
		.amdhsa_user_sgpr_dispatch_id 0
		.amdhsa_user_sgpr_flat_scratch_init 0
		.amdhsa_user_sgpr_kernarg_preload_length 0
		.amdhsa_user_sgpr_kernarg_preload_offset 0
		.amdhsa_user_sgpr_private_segment_size 0
		.amdhsa_uses_dynamic_stack 0
		.amdhsa_system_sgpr_private_segment_wavefront_offset 0
		.amdhsa_system_sgpr_workgroup_id_x 1
		.amdhsa_system_sgpr_workgroup_id_y 1
		.amdhsa_system_sgpr_workgroup_id_z 1
		.amdhsa_system_sgpr_workgroup_info 0
		.amdhsa_system_vgpr_workitem_id 1
		.amdhsa_next_free_vgpr 46
		.amdhsa_next_free_sgpr 32
		.amdhsa_accum_offset 48
		.amdhsa_reserve_vcc 1
		.amdhsa_reserve_flat_scratch 0
		.amdhsa_float_round_mode_32 0
		.amdhsa_float_round_mode_16_64 0
		.amdhsa_float_denorm_mode_32 3
		.amdhsa_float_denorm_mode_16_64 3
		.amdhsa_dx10_clamp 1
		.amdhsa_ieee_mode 1
		.amdhsa_fp16_overflow 0
		.amdhsa_tg_split 0
		.amdhsa_exception_fp_ieee_invalid_op 0
		.amdhsa_exception_fp_denorm_src 0
		.amdhsa_exception_fp_ieee_div_zero 0
		.amdhsa_exception_fp_ieee_overflow 0
		.amdhsa_exception_fp_ieee_underflow 0
		.amdhsa_exception_fp_ieee_inexact 0
		.amdhsa_exception_int_div_zero 0
	.end_amdhsa_kernel
	.section	.text._ZL24rocblas_symm_hemm_kernelILb1ELb1ELi32EPK19rocblas_complex_numIfEPKS3_PKPS1_EvbiiT2_T3_lllSA_lllT4_llli,"axG",@progbits,_ZL24rocblas_symm_hemm_kernelILb1ELb1ELi32EPK19rocblas_complex_numIfEPKS3_PKPS1_EvbiiT2_T3_lllSA_lllT4_llli,comdat
.Lfunc_end57:
	.size	_ZL24rocblas_symm_hemm_kernelILb1ELb1ELi32EPK19rocblas_complex_numIfEPKS3_PKPS1_EvbiiT2_T3_lllSA_lllT4_llli, .Lfunc_end57-_ZL24rocblas_symm_hemm_kernelILb1ELb1ELi32EPK19rocblas_complex_numIfEPKS3_PKPS1_EvbiiT2_T3_lllSA_lllT4_llli
                                        ; -- End function
	.section	.AMDGPU.csdata,"",@progbits
; Kernel info:
; codeLenInByte = 2272
; NumSgprs: 36
; NumVgprs: 46
; NumAgprs: 0
; TotalNumVgprs: 46
; ScratchSize: 0
; MemoryBound: 0
; FloatMode: 240
; IeeeMode: 1
; LDSByteSize: 16384 bytes/workgroup (compile time only)
; SGPRBlocks: 4
; VGPRBlocks: 5
; NumSGPRsForWavesPerEU: 36
; NumVGPRsForWavesPerEU: 46
; AccumOffset: 48
; Occupancy: 8
; WaveLimiterHint : 1
; COMPUTE_PGM_RSRC2:SCRATCH_EN: 0
; COMPUTE_PGM_RSRC2:USER_SGPR: 6
; COMPUTE_PGM_RSRC2:TRAP_HANDLER: 0
; COMPUTE_PGM_RSRC2:TGID_X_EN: 1
; COMPUTE_PGM_RSRC2:TGID_Y_EN: 1
; COMPUTE_PGM_RSRC2:TGID_Z_EN: 1
; COMPUTE_PGM_RSRC2:TIDIG_COMP_CNT: 1
; COMPUTE_PGM_RSRC3_GFX90A:ACCUM_OFFSET: 11
; COMPUTE_PGM_RSRC3_GFX90A:TG_SPLIT: 0
	.section	.text._ZL24rocblas_symm_hemm_kernelILb1ELb0ELi32E19rocblas_complex_numIfEPKPKS1_PKPS1_EvbiiT2_T3_lllSA_lllT4_llli,"axG",@progbits,_ZL24rocblas_symm_hemm_kernelILb1ELb0ELi32E19rocblas_complex_numIfEPKPKS1_PKPS1_EvbiiT2_T3_lllSA_lllT4_llli,comdat
	.globl	_ZL24rocblas_symm_hemm_kernelILb1ELb0ELi32E19rocblas_complex_numIfEPKPKS1_PKPS1_EvbiiT2_T3_lllSA_lllT4_llli ; -- Begin function _ZL24rocblas_symm_hemm_kernelILb1ELb0ELi32E19rocblas_complex_numIfEPKPKS1_PKPS1_EvbiiT2_T3_lllSA_lllT4_llli
	.p2align	8
	.type	_ZL24rocblas_symm_hemm_kernelILb1ELb0ELi32E19rocblas_complex_numIfEPKPKS1_PKPS1_EvbiiT2_T3_lllSA_lllT4_llli,@function
_ZL24rocblas_symm_hemm_kernelILb1ELb0ELi32E19rocblas_complex_numIfEPKPKS1_PKPS1_EvbiiT2_T3_lllSA_lllT4_llli: ; @_ZL24rocblas_symm_hemm_kernelILb1ELb0ELi32E19rocblas_complex_numIfEPKPKS1_PKPS1_EvbiiT2_T3_lllSA_lllT4_llli
; %bb.0:
	s_load_dwordx4 s[12:15], s[4:5], 0x0
	s_load_dword s17, s[4:5], 0x10
	s_waitcnt lgkmcnt(0)
	v_cmp_eq_f32_e64 s[0:1], s15, 0
	v_cmp_eq_f32_e64 s[2:3], s17, 0
	s_and_b64 s[0:1], s[0:1], s[2:3]
	s_and_b64 vcc, exec, s[0:1]
	s_cbranch_vccnz .LBB58_21
; %bb.1:
	s_add_i32 s0, s14, -1
	s_ashr_i32 s1, s0, 31
	s_lshr_b32 s1, s1, 27
	s_add_i32 s0, s0, s1
	s_ashr_i32 s30, s0, 5
	s_cmp_gt_i32 s7, s30
	s_cbranch_scc1 .LBB58_21
; %bb.2:
	s_load_dwordx4 s[0:3], s[4:5], 0x18
	s_load_dwordx2 s[18:19], s[4:5], 0x28
	s_load_dwordx4 s[24:27], s[4:5], 0x38
	s_load_dwordx2 s[20:21], s[4:5], 0x48
	s_mov_b32 s9, 0
	s_lshl_b64 s[28:29], s[8:9], 3
	s_waitcnt lgkmcnt(0)
	s_add_u32 s0, s0, s28
	s_addc_u32 s1, s1, s29
	s_add_u32 s24, s24, s28
	s_addc_u32 s25, s25, s29
	s_load_dwordx2 s[34:35], s[24:25], 0x0
	s_load_dwordx2 s[22:23], s[4:5], 0x68
	s_load_dwordx4 s[8:11], s[4:5], 0x58
	s_lshl_b64 s[24:25], s[26:27], 3
	s_mov_b32 s16, s15
	s_waitcnt lgkmcnt(0)
	s_add_u32 s15, s34, s24
	s_addc_u32 s31, s35, s25
	s_add_u32 s8, s8, s28
	s_addc_u32 s9, s9, s29
	s_load_dwordx2 s[24:25], s[8:9], 0x0
	s_load_dwordx2 s[26:27], s[0:1], 0x0
	s_bitcmp1_b32 s12, 0
	s_cselect_b64 s[0:1], -1, 0
	s_lshl_b64 s[8:9], s[10:11], 3
	s_waitcnt lgkmcnt(0)
	s_add_u32 s8, s24, s8
	v_and_b32_e32 v14, 0x3ff, v0
	s_addc_u32 s9, s25, s9
	s_lshl_b64 s[2:3], s[2:3], 3
	v_lshl_add_u32 v8, s6, 5, v14
	s_add_u32 s10, s26, s2
	v_ashrrev_i32_e32 v9, 31, v8
	s_addc_u32 s11, s27, s3
	v_bfe_u32 v15, v0, 10, 10
	v_lshlrev_b64 v[0:1], 3, v[8:9]
	v_mov_b32_e32 v2, s11
	v_add_co_u32_e32 v16, vcc, s10, v0
	v_addc_co_u32_e32 v17, vcc, v2, v1, vcc
	v_mul_lo_u32 v4, v9, s18
	v_mul_lo_u32 v5, v8, s19
	v_mad_u64_u32 v[2:3], s[2:3], v8, s18, 0
	v_add3_u32 v3, v3, v5, v4
	v_lshlrev_b64 v[2:3], 3, v[2:3]
	v_mov_b32_e32 v4, s11
	v_add_co_u32_e32 v9, vcc, s10, v2
	v_addc_co_u32_e32 v18, vcc, v4, v3, vcc
	v_lshlrev_b32_e32 v4, 3, v15
	v_lshlrev_b32_e32 v19, 8, v14
	s_load_dword s6, s[4:5], 0x84
	s_cmp_gt_i32 s13, 0
	v_add_u32_e32 v20, v19, v4
	v_or_b32_e32 v21, 0x2000, v4
	v_mov_b32_e32 v4, s9
	v_add_co_u32_e32 v23, vcc, s8, v0
	v_addc_co_u32_e32 v24, vcc, v4, v1, vcc
	s_cselect_b64 s[4:5], -1, 0
	v_add_co_u32_e32 v10, vcc, v16, v2
	v_cndmask_b32_e64 v0, 0, 1, s[4:5]
	v_add_u32_e32 v22, v21, v19
	v_cmp_gt_i32_e64 s[2:3], s13, v8
	v_addc_co_u32_e32 v11, vcc, v17, v3, vcc
	v_cmp_ne_u32_e64 s[4:5], 1, v0
	s_branch .LBB58_4
.LBB58_3:                               ;   in Loop: Header=BB58_4 Depth=1
	s_waitcnt lgkmcnt(0)
	s_add_i32 s7, s7, s6
	s_cmp_gt_i32 s7, s30
	s_cbranch_scc1 .LBB58_21
.LBB58_4:                               ; =>This Loop Header: Depth=1
                                        ;     Child Loop BB58_7 Depth 2
	s_and_b64 vcc, exec, s[4:5]
	s_cbranch_vccnz .LBB58_3
; %bb.5:                                ;   in Loop: Header=BB58_4 Depth=1
	v_lshl_add_u32 v2, s7, 5, v15
	v_ashrrev_i32_e32 v3, 31, v2
	v_mul_lo_u32 v4, v3, s20
	v_mul_lo_u32 v5, v2, s21
	v_mad_u64_u32 v[0:1], s[8:9], v2, s20, 0
	v_add3_u32 v1, v1, v5, v4
	v_lshlrev_b64 v[0:1], 3, v[0:1]
	v_mov_b32_e32 v4, s31
	v_add_co_u32_e64 v25, s[8:9], s15, v0
	v_addc_co_u32_e64 v26, s[8:9], v4, v1, s[8:9]
	v_mul_lo_u32 v3, v3, s22
	v_mul_lo_u32 v4, v2, s23
	v_mad_u64_u32 v[0:1], s[8:9], v2, s22, 0
	v_add3_u32 v1, v1, v4, v3
	v_lshlrev_b64 v[0:1], 3, v[0:1]
	v_cmp_gt_i32_e32 vcc, s14, v2
	v_add_co_u32_e64 v12, s[8:9], v23, v0
	s_and_b64 s[24:25], s[2:3], vcc
	v_addc_co_u32_e64 v13, s[8:9], v24, v1, s[8:9]
	s_mov_b32 s12, 0
	s_branch .LBB58_7
.LBB58_6:                               ;   in Loop: Header=BB58_7 Depth=2
	s_or_b64 exec, exec, s[8:9]
	s_add_i32 s12, s12, 32
	s_cmp_ge_i32 s12, s13
	s_barrier
	s_cbranch_scc1 .LBB58_3
.LBB58_7:                               ;   Parent Loop BB58_4 Depth=1
                                        ; =>  This Inner Loop Header: Depth=2
	v_add_u32_e32 v4, s12, v15
	v_cndmask_b32_e64 v0, v4, v8, s[0:1]
	v_cndmask_b32_e64 v1, v8, v4, s[0:1]
	v_cmp_gt_i32_e64 s[10:11], v0, v1
	v_cmp_le_i32_e64 s[8:9], v0, v1
	v_cndmask_b32_e64 v0, v8, v4, s[10:11]
	v_cndmask_b32_e64 v1, v4, v8, s[10:11]
	v_max_i32_e32 v0, v0, v1
	v_cmp_gt_i32_e64 s[10:11], s13, v0
	v_mov_b32_e32 v0, 0
	v_mov_b32_e32 v2, 0
	;; [unrolled: 1-line block ×3, first 2 shown]
	s_and_saveexec_b64 s[26:27], s[10:11]
	s_cbranch_execz .LBB58_17
; %bb.8:                                ;   in Loop: Header=BB58_7 Depth=2
                                        ; implicit-def: $vgpr3
	s_and_saveexec_b64 s[10:11], s[8:9]
	s_xor_b64 s[10:11], exec, s[10:11]
	s_cbranch_execz .LBB58_14
; %bb.9:                                ;   in Loop: Header=BB58_7 Depth=2
	v_cmp_ne_u32_e64 s[8:9], v4, v8
                                        ; implicit-def: $vgpr3
	s_and_saveexec_b64 s[28:29], s[8:9]
	s_xor_b64 s[28:29], exec, s[28:29]
	s_cbranch_execz .LBB58_11
; %bb.10:                               ;   in Loop: Header=BB58_7 Depth=2
	v_ashrrev_i32_e32 v1, 31, v4
	v_mul_lo_u32 v5, v4, s19
	v_mul_lo_u32 v1, v1, s18
	v_mad_u64_u32 v[2:3], s[8:9], v4, s18, 0
	v_add3_u32 v3, v3, v5, v1
	v_lshlrev_b64 v[2:3], 3, v[2:3]
	v_add_co_u32_e64 v2, s[8:9], v16, v2
	v_addc_co_u32_e64 v3, s[8:9], v17, v3, s[8:9]
	global_load_dwordx2 v[2:3], v[2:3], off
.LBB58_11:                              ;   in Loop: Header=BB58_7 Depth=2
	s_andn2_saveexec_b64 s[8:9], s[28:29]
	s_cbranch_execz .LBB58_13
; %bb.12:                               ;   in Loop: Header=BB58_7 Depth=2
	global_load_dword v2, v[10:11], off
	s_waitcnt vmcnt(1)
	v_mov_b32_e32 v3, 0
.LBB58_13:                              ;   in Loop: Header=BB58_7 Depth=2
	s_or_b64 exec, exec, s[8:9]
                                        ; implicit-def: $vgpr4
.LBB58_14:                              ;   in Loop: Header=BB58_7 Depth=2
	s_andn2_saveexec_b64 s[10:11], s[10:11]
	s_cbranch_execz .LBB58_16
; %bb.15:                               ;   in Loop: Header=BB58_7 Depth=2
	v_ashrrev_i32_e32 v5, 31, v4
	s_waitcnt vmcnt(0)
	v_lshlrev_b64 v[2:3], 3, v[4:5]
	v_add_co_u32_e64 v2, s[8:9], v9, v2
	v_addc_co_u32_e64 v3, s[8:9], v18, v3, s[8:9]
	global_load_dwordx2 v[2:3], v[2:3], off
	s_waitcnt vmcnt(0)
	v_xor_b32_e32 v3, 0x80000000, v3
.LBB58_16:                              ;   in Loop: Header=BB58_7 Depth=2
	s_or_b64 exec, exec, s[10:11]
.LBB58_17:                              ;   in Loop: Header=BB58_7 Depth=2
	s_or_b64 exec, exec, s[26:27]
	s_waitcnt vmcnt(0)
	ds_write_b64 v20, v[2:3]
	v_add_u32_e32 v2, s12, v14
	v_cmp_gt_i32_e64 s[8:9], s13, v2
	s_and_b64 s[8:9], s[8:9], vcc
	v_mov_b32_e32 v1, 0
	s_and_saveexec_b64 s[10:11], s[8:9]
	s_cbranch_execz .LBB58_19
; %bb.18:                               ;   in Loop: Header=BB58_7 Depth=2
	v_ashrrev_i32_e32 v3, 31, v2
	v_lshlrev_b64 v[0:1], 3, v[2:3]
	v_add_co_u32_e64 v0, s[8:9], v25, v0
	v_addc_co_u32_e64 v1, s[8:9], v26, v1, s[8:9]
	global_load_dwordx2 v[0:1], v[0:1], off
.LBB58_19:                              ;   in Loop: Header=BB58_7 Depth=2
	s_or_b64 exec, exec, s[10:11]
	s_waitcnt vmcnt(0)
	ds_write_b64 v22, v[0:1]
	s_waitcnt lgkmcnt(0)
	s_barrier
	s_and_saveexec_b64 s[8:9], s[24:25]
	s_cbranch_execz .LBB58_6
; %bb.20:                               ;   in Loop: Header=BB58_7 Depth=2
	ds_read2_b64 v[0:3], v21 offset1:32
	ds_read_b128 v[4:7], v19
	ds_read_b128 v[28:31], v19 offset:16
	ds_read_b128 v[32:35], v19 offset:32
	;; [unrolled: 1-line block ×3, first 2 shown]
	ds_read2_b64 v[40:43], v21 offset0:64 offset1:96
	s_waitcnt lgkmcnt(4)
	v_mul_f32_e32 v27, v1, v5
	v_fma_f32 v27, v0, v4, -v27
	v_mul_f32_e32 v0, v0, v5
	v_fmac_f32_e32 v0, v1, v4
	v_mul_f32_e32 v4, v3, v7
	v_fma_f32 v4, v2, v6, -v4
	v_mul_f32_e32 v2, v2, v7
	v_add_f32_e32 v0, 0, v0
	v_fmac_f32_e32 v2, v3, v6
	s_waitcnt lgkmcnt(0)
	v_mul_f32_e32 v3, v40, v29
	v_add_f32_e32 v1, 0, v27
	v_add_f32_e32 v0, v0, v2
	v_mul_f32_e32 v2, v41, v29
	v_fmac_f32_e32 v3, v41, v28
	v_add_f32_e32 v1, v1, v4
	v_fma_f32 v2, v40, v28, -v2
	v_add_f32_e32 v5, v0, v3
	v_mul_f32_e32 v0, v43, v31
	v_add_f32_e32 v4, v1, v2
	v_fma_f32 v6, v42, v30, -v0
	ds_read2_b64 v[0:3], v21 offset0:128 offset1:160
	v_mul_f32_e32 v7, v42, v31
	v_add_f32_e32 v4, v4, v6
	v_fmac_f32_e32 v7, v43, v30
	v_add_f32_e32 v5, v5, v7
	s_waitcnt lgkmcnt(0)
	v_mul_f32_e32 v6, v1, v33
	v_fma_f32 v6, v0, v32, -v6
	v_mul_f32_e32 v0, v0, v33
	v_fmac_f32_e32 v0, v1, v32
	v_add_f32_e32 v1, v4, v6
	v_mul_f32_e32 v4, v3, v35
	v_add_f32_e32 v0, v5, v0
	v_fma_f32 v27, v2, v34, -v4
	ds_read2_b64 v[4:7], v21 offset0:192 offset1:224
	v_mul_f32_e32 v2, v2, v35
	v_fmac_f32_e32 v2, v3, v34
	v_add_f32_e32 v0, v0, v2
	v_add_f32_e32 v1, v1, v27
	s_waitcnt lgkmcnt(0)
	v_mul_f32_e32 v3, v4, v37
	v_mul_f32_e32 v2, v5, v37
	v_fmac_f32_e32 v3, v5, v36
	v_fma_f32 v2, v4, v36, -v2
	v_add_f32_e32 v5, v0, v3
	v_mul_f32_e32 v0, v7, v39
	v_add_u32_e32 v36, 0x800, v21
	v_add_f32_e32 v4, v1, v2
	v_fma_f32 v27, v6, v38, -v0
	ds_read2_b64 v[0:3], v36 offset1:32
	ds_read_b128 v[28:31], v19 offset:64
	v_mul_f32_e32 v6, v6, v39
	v_fmac_f32_e32 v6, v7, v38
	v_add_f32_e32 v27, v4, v27
	v_add_f32_e32 v32, v5, v6
	s_waitcnt lgkmcnt(0)
	v_mul_f32_e32 v33, v1, v29
	v_fma_f32 v33, v0, v28, -v33
	v_mul_f32_e32 v0, v0, v29
	v_fmac_f32_e32 v0, v1, v28
	ds_read_b128 v[4:7], v19 offset:80
	v_add_f32_e32 v1, v27, v33
	v_add_f32_e32 v0, v32, v0
	ds_read2_b64 v[32:35], v36 offset0:64 offset1:96
	v_mul_f32_e32 v27, v3, v31
	v_fma_f32 v27, v2, v30, -v27
	v_mul_f32_e32 v2, v2, v31
	v_fmac_f32_e32 v2, v3, v30
	s_waitcnt lgkmcnt(0)
	v_mul_f32_e32 v3, v32, v5
	v_add_f32_e32 v0, v0, v2
	v_mul_f32_e32 v2, v33, v5
	v_fmac_f32_e32 v3, v33, v4
	v_add_f32_e32 v1, v1, v27
	v_fma_f32 v2, v32, v4, -v2
	v_add_f32_e32 v5, v0, v3
	v_mul_f32_e32 v0, v35, v7
	v_add_f32_e32 v4, v1, v2
	v_fma_f32 v27, v34, v6, -v0
	ds_read2_b64 v[0:3], v36 offset0:128 offset1:160
	ds_read_b128 v[28:31], v19 offset:96
	v_mul_f32_e32 v7, v34, v7
	v_fmac_f32_e32 v7, v35, v6
	v_add_f32_e32 v27, v4, v27
	v_add_f32_e32 v32, v5, v7
	s_waitcnt lgkmcnt(0)
	v_mul_f32_e32 v33, v1, v29
	v_fma_f32 v33, v0, v28, -v33
	v_mul_f32_e32 v0, v0, v29
	v_fmac_f32_e32 v0, v1, v28
	ds_read_b128 v[4:7], v19 offset:112
	v_add_f32_e32 v1, v27, v33
	v_add_f32_e32 v0, v32, v0
	ds_read2_b64 v[32:35], v36 offset0:192 offset1:224
	v_mul_f32_e32 v27, v3, v31
	v_fma_f32 v27, v2, v30, -v27
	v_mul_f32_e32 v2, v2, v31
	v_fmac_f32_e32 v2, v3, v30
	s_waitcnt lgkmcnt(0)
	v_mul_f32_e32 v3, v32, v5
	v_add_f32_e32 v0, v0, v2
	v_mul_f32_e32 v2, v33, v5
	v_fmac_f32_e32 v3, v33, v4
	v_add_f32_e32 v1, v1, v27
	v_fma_f32 v2, v32, v4, -v2
	v_add_f32_e32 v5, v0, v3
	v_mul_f32_e32 v0, v35, v7
	v_add_u32_e32 v40, 0x1000, v21
	v_add_f32_e32 v4, v1, v2
	v_fma_f32 v27, v34, v6, -v0
	ds_read2_b64 v[0:3], v40 offset1:32
	ds_read_b128 v[28:31], v19 offset:128
	v_mul_f32_e32 v7, v34, v7
	v_fmac_f32_e32 v7, v35, v6
	ds_read_b128 v[32:35], v19 offset:144
	ds_read2_b64 v[36:39], v40 offset0:64 offset1:96
	s_waitcnt lgkmcnt(2)
	v_mul_f32_e32 v6, v1, v29
	v_add_f32_e32 v4, v4, v27
	v_fma_f32 v6, v0, v28, -v6
	v_mul_f32_e32 v0, v0, v29
	v_fmac_f32_e32 v0, v1, v28
	v_add_f32_e32 v1, v4, v6
	v_mul_f32_e32 v4, v3, v31
	v_add_f32_e32 v5, v5, v7
	v_fma_f32 v4, v2, v30, -v4
	v_mul_f32_e32 v2, v2, v31
	v_add_f32_e32 v0, v5, v0
	v_fmac_f32_e32 v2, v3, v30
	s_waitcnt lgkmcnt(0)
	v_mul_f32_e32 v3, v36, v33
	v_add_f32_e32 v0, v0, v2
	v_mul_f32_e32 v2, v37, v33
	v_fmac_f32_e32 v3, v37, v32
	v_add_f32_e32 v1, v1, v4
	v_fma_f32 v2, v36, v32, -v2
	v_add_f32_e32 v28, v0, v3
	v_mul_f32_e32 v0, v39, v35
	v_add_f32_e32 v27, v1, v2
	v_fma_f32 v29, v38, v34, -v0
	ds_read2_b64 v[0:3], v40 offset0:128 offset1:160
	ds_read_b128 v[4:7], v19 offset:160
	global_load_dwordx2 v[36:37], v[12:13], off
	v_mul_f32_e32 v30, v38, v35
	v_fmac_f32_e32 v30, v39, v34
	v_add_f32_e32 v27, v27, v29
	s_waitcnt lgkmcnt(0)
	v_mul_f32_e32 v33, v1, v5
	v_fma_f32 v33, v0, v4, -v33
	v_mul_f32_e32 v0, v0, v5
	v_add_f32_e32 v32, v28, v30
	v_fmac_f32_e32 v0, v1, v4
	ds_read_b128 v[28:31], v19 offset:176
	v_add_f32_e32 v1, v27, v33
	v_add_f32_e32 v0, v32, v0
	ds_read2_b64 v[32:35], v40 offset0:192 offset1:224
	v_mul_f32_e32 v4, v3, v7
	v_fma_f32 v4, v2, v6, -v4
	v_mul_f32_e32 v2, v2, v7
	v_fmac_f32_e32 v2, v3, v6
	s_waitcnt lgkmcnt(0)
	v_mul_f32_e32 v3, v32, v29
	v_add_f32_e32 v0, v0, v2
	v_mul_f32_e32 v2, v33, v29
	v_fmac_f32_e32 v3, v33, v28
	v_add_f32_e32 v1, v1, v4
	v_fma_f32 v2, v32, v28, -v2
	v_add_f32_e32 v28, v0, v3
	v_mul_f32_e32 v0, v35, v31
	v_add_u32_e32 v38, 0x1800, v21
	v_add_f32_e32 v27, v1, v2
	v_fma_f32 v29, v34, v30, -v0
	ds_read2_b64 v[0:3], v38 offset1:32
	ds_read_b128 v[4:7], v19 offset:192
	v_mul_f32_e32 v31, v34, v31
	v_fmac_f32_e32 v31, v35, v30
	v_add_f32_e32 v27, v27, v29
	v_add_f32_e32 v32, v28, v31
	s_waitcnt lgkmcnt(0)
	v_mul_f32_e32 v33, v1, v5
	v_fma_f32 v33, v0, v4, -v33
	v_mul_f32_e32 v0, v0, v5
	v_fmac_f32_e32 v0, v1, v4
	ds_read_b128 v[28:31], v19 offset:208
	v_add_f32_e32 v1, v27, v33
	v_add_f32_e32 v0, v32, v0
	ds_read2_b64 v[32:35], v38 offset0:64 offset1:96
	v_mul_f32_e32 v4, v3, v7
	v_fma_f32 v4, v2, v6, -v4
	v_mul_f32_e32 v2, v2, v7
	v_fmac_f32_e32 v2, v3, v6
	s_waitcnt lgkmcnt(0)
	v_mul_f32_e32 v3, v32, v29
	v_add_f32_e32 v0, v0, v2
	v_mul_f32_e32 v2, v33, v29
	v_fmac_f32_e32 v3, v33, v28
	v_add_f32_e32 v1, v1, v4
	v_fma_f32 v2, v32, v28, -v2
	v_add_f32_e32 v28, v0, v3
	v_mul_f32_e32 v0, v35, v31
	v_add_f32_e32 v27, v1, v2
	v_fma_f32 v29, v34, v30, -v0
	ds_read2_b64 v[0:3], v38 offset0:128 offset1:160
	ds_read_b128 v[4:7], v19 offset:224
	v_mul_f32_e32 v31, v34, v31
	v_fmac_f32_e32 v31, v35, v30
	v_add_f32_e32 v27, v27, v29
	v_add_f32_e32 v32, v28, v31
	s_waitcnt lgkmcnt(0)
	v_mul_f32_e32 v33, v1, v5
	v_fma_f32 v33, v0, v4, -v33
	v_mul_f32_e32 v0, v0, v5
	v_fmac_f32_e32 v0, v1, v4
	ds_read_b128 v[28:31], v19 offset:240
	v_add_f32_e32 v1, v27, v33
	v_add_f32_e32 v0, v32, v0
	ds_read2_b64 v[32:35], v38 offset0:192 offset1:224
	v_mul_f32_e32 v4, v3, v7
	v_fma_f32 v4, v2, v6, -v4
	v_mul_f32_e32 v2, v2, v7
	v_fmac_f32_e32 v2, v3, v6
	v_add_f32_e32 v0, v0, v2
	s_waitcnt lgkmcnt(0)
	v_mul_f32_e32 v2, v33, v29
	v_mul_f32_e32 v3, v32, v29
	v_add_f32_e32 v1, v1, v4
	v_fma_f32 v2, v32, v28, -v2
	v_fmac_f32_e32 v3, v33, v28
	v_add_f32_e32 v1, v1, v2
	v_add_f32_e32 v2, v0, v3
	v_mul_f32_e32 v3, v34, v31
	v_mul_f32_e32 v0, v35, v31
	v_fmac_f32_e32 v3, v35, v30
	v_fma_f32 v0, v34, v30, -v0
	v_add_f32_e32 v2, v2, v3
	v_add_f32_e32 v0, v1, v0
	v_pk_mul_f32 v[2:3], s[16:17], v[2:3] op_sel_hi:[1,0]
	v_pk_fma_f32 v[4:5], s[16:17], v[0:1], v[2:3] op_sel:[0,0,1] op_sel_hi:[1,1,0] neg_lo:[0,0,1] neg_hi:[0,0,1]
	v_pk_fma_f32 v[0:1], s[16:17], v[0:1], v[2:3] op_sel:[0,0,1] op_sel_hi:[1,0,0]
	v_mov_b32_e32 v5, v1
	s_waitcnt vmcnt(0)
	v_pk_add_f32 v[0:1], v[36:37], v[4:5]
	global_store_dwordx2 v[12:13], v[0:1], off
	s_branch .LBB58_6
.LBB58_21:
	s_endpgm
	.section	.rodata,"a",@progbits
	.p2align	6, 0x0
	.amdhsa_kernel _ZL24rocblas_symm_hemm_kernelILb1ELb0ELi32E19rocblas_complex_numIfEPKPKS1_PKPS1_EvbiiT2_T3_lllSA_lllT4_llli
		.amdhsa_group_segment_fixed_size 16384
		.amdhsa_private_segment_fixed_size 0
		.amdhsa_kernarg_size 384
		.amdhsa_user_sgpr_count 6
		.amdhsa_user_sgpr_private_segment_buffer 1
		.amdhsa_user_sgpr_dispatch_ptr 0
		.amdhsa_user_sgpr_queue_ptr 0
		.amdhsa_user_sgpr_kernarg_segment_ptr 1
		.amdhsa_user_sgpr_dispatch_id 0
		.amdhsa_user_sgpr_flat_scratch_init 0
		.amdhsa_user_sgpr_kernarg_preload_length 0
		.amdhsa_user_sgpr_kernarg_preload_offset 0
		.amdhsa_user_sgpr_private_segment_size 0
		.amdhsa_uses_dynamic_stack 0
		.amdhsa_system_sgpr_private_segment_wavefront_offset 0
		.amdhsa_system_sgpr_workgroup_id_x 1
		.amdhsa_system_sgpr_workgroup_id_y 1
		.amdhsa_system_sgpr_workgroup_id_z 1
		.amdhsa_system_sgpr_workgroup_info 0
		.amdhsa_system_vgpr_workitem_id 1
		.amdhsa_next_free_vgpr 44
		.amdhsa_next_free_sgpr 36
		.amdhsa_accum_offset 44
		.amdhsa_reserve_vcc 1
		.amdhsa_reserve_flat_scratch 0
		.amdhsa_float_round_mode_32 0
		.amdhsa_float_round_mode_16_64 0
		.amdhsa_float_denorm_mode_32 3
		.amdhsa_float_denorm_mode_16_64 3
		.amdhsa_dx10_clamp 1
		.amdhsa_ieee_mode 1
		.amdhsa_fp16_overflow 0
		.amdhsa_tg_split 0
		.amdhsa_exception_fp_ieee_invalid_op 0
		.amdhsa_exception_fp_denorm_src 0
		.amdhsa_exception_fp_ieee_div_zero 0
		.amdhsa_exception_fp_ieee_overflow 0
		.amdhsa_exception_fp_ieee_underflow 0
		.amdhsa_exception_fp_ieee_inexact 0
		.amdhsa_exception_int_div_zero 0
	.end_amdhsa_kernel
	.section	.text._ZL24rocblas_symm_hemm_kernelILb1ELb0ELi32E19rocblas_complex_numIfEPKPKS1_PKPS1_EvbiiT2_T3_lllSA_lllT4_llli,"axG",@progbits,_ZL24rocblas_symm_hemm_kernelILb1ELb0ELi32E19rocblas_complex_numIfEPKPKS1_PKPS1_EvbiiT2_T3_lllSA_lllT4_llli,comdat
.Lfunc_end58:
	.size	_ZL24rocblas_symm_hemm_kernelILb1ELb0ELi32E19rocblas_complex_numIfEPKPKS1_PKPS1_EvbiiT2_T3_lllSA_lllT4_llli, .Lfunc_end58-_ZL24rocblas_symm_hemm_kernelILb1ELb0ELi32E19rocblas_complex_numIfEPKPKS1_PKPS1_EvbiiT2_T3_lllSA_lllT4_llli
                                        ; -- End function
	.section	.AMDGPU.csdata,"",@progbits
; Kernel info:
; codeLenInByte = 2308
; NumSgprs: 40
; NumVgprs: 44
; NumAgprs: 0
; TotalNumVgprs: 44
; ScratchSize: 0
; MemoryBound: 0
; FloatMode: 240
; IeeeMode: 1
; LDSByteSize: 16384 bytes/workgroup (compile time only)
; SGPRBlocks: 4
; VGPRBlocks: 5
; NumSGPRsForWavesPerEU: 40
; NumVGPRsForWavesPerEU: 44
; AccumOffset: 44
; Occupancy: 8
; WaveLimiterHint : 1
; COMPUTE_PGM_RSRC2:SCRATCH_EN: 0
; COMPUTE_PGM_RSRC2:USER_SGPR: 6
; COMPUTE_PGM_RSRC2:TRAP_HANDLER: 0
; COMPUTE_PGM_RSRC2:TGID_X_EN: 1
; COMPUTE_PGM_RSRC2:TGID_Y_EN: 1
; COMPUTE_PGM_RSRC2:TGID_Z_EN: 1
; COMPUTE_PGM_RSRC2:TIDIG_COMP_CNT: 1
; COMPUTE_PGM_RSRC3_GFX90A:ACCUM_OFFSET: 10
; COMPUTE_PGM_RSRC3_GFX90A:TG_SPLIT: 0
	.section	.text._ZL24rocblas_symm_hemm_kernelILb1ELb1ELi32E19rocblas_complex_numIfEPKPKS1_PKPS1_EvbiiT2_T3_lllSA_lllT4_llli,"axG",@progbits,_ZL24rocblas_symm_hemm_kernelILb1ELb1ELi32E19rocblas_complex_numIfEPKPKS1_PKPS1_EvbiiT2_T3_lllSA_lllT4_llli,comdat
	.globl	_ZL24rocblas_symm_hemm_kernelILb1ELb1ELi32E19rocblas_complex_numIfEPKPKS1_PKPS1_EvbiiT2_T3_lllSA_lllT4_llli ; -- Begin function _ZL24rocblas_symm_hemm_kernelILb1ELb1ELi32E19rocblas_complex_numIfEPKPKS1_PKPS1_EvbiiT2_T3_lllSA_lllT4_llli
	.p2align	8
	.type	_ZL24rocblas_symm_hemm_kernelILb1ELb1ELi32E19rocblas_complex_numIfEPKPKS1_PKPS1_EvbiiT2_T3_lllSA_lllT4_llli,@function
_ZL24rocblas_symm_hemm_kernelILb1ELb1ELi32E19rocblas_complex_numIfEPKPKS1_PKPS1_EvbiiT2_T3_lllSA_lllT4_llli: ; @_ZL24rocblas_symm_hemm_kernelILb1ELb1ELi32E19rocblas_complex_numIfEPKPKS1_PKPS1_EvbiiT2_T3_lllSA_lllT4_llli
; %bb.0:
	s_load_dwordx4 s[12:15], s[4:5], 0x0
	s_load_dword s11, s[4:5], 0x10
	s_waitcnt lgkmcnt(0)
	v_cmp_eq_f32_e64 s[0:1], s15, 0
	v_cmp_eq_f32_e64 s[2:3], s11, 0
	s_and_b64 s[0:1], s[0:1], s[2:3]
	s_and_b64 vcc, exec, s[0:1]
	s_cbranch_vccnz .LBB59_21
; %bb.1:
	s_add_i32 s0, s14, -1
	s_ashr_i32 s1, s0, 31
	s_lshr_b32 s1, s1, 27
	s_add_i32 s0, s0, s1
	s_ashr_i32 s26, s0, 5
	s_cmp_gt_i32 s7, s26
	s_cbranch_scc1 .LBB59_21
; %bb.2:
	s_load_dwordx4 s[0:3], s[4:5], 0x18
	s_load_dwordx2 s[16:17], s[4:5], 0x28
	s_mov_b32 s9, 0
	s_lshl_b64 s[8:9], s[8:9], 3
	s_mov_b32 s10, s15
	s_waitcnt lgkmcnt(0)
	s_add_u32 s0, s0, s8
	s_addc_u32 s1, s1, s9
	s_load_dwordx2 s[22:23], s[0:1], 0x0
	s_load_dwordx4 s[28:31], s[4:5], 0x38
	s_load_dwordx2 s[18:19], s[4:5], 0x48
	s_load_dwordx2 s[20:21], s[4:5], 0x68
	s_load_dwordx4 s[36:39], s[4:5], 0x58
	s_lshl_b64 s[0:1], s[2:3], 3
	s_waitcnt lgkmcnt(0)
	s_add_u32 s15, s22, s0
	s_addc_u32 s27, s23, s1
	s_add_u32 s0, s28, s8
	s_addc_u32 s1, s29, s9
	;; [unrolled: 2-line block ×3, first 2 shown]
	s_load_dwordx2 s[8:9], s[2:3], 0x0
	s_load_dwordx2 s[22:23], s[0:1], 0x0
	s_bitcmp1_b32 s12, 0
	s_cselect_b64 s[0:1], -1, 0
	s_lshl_b64 s[2:3], s[38:39], 3
	s_waitcnt lgkmcnt(0)
	s_add_u32 s8, s8, s2
	v_and_b32_e32 v14, 0x3ff, v0
	s_addc_u32 s9, s9, s3
	s_lshl_b64 s[2:3], s[30:31], 3
	v_lshl_add_u32 v2, s6, 5, v14
	s_add_u32 s12, s22, s2
	v_ashrrev_i32_e32 v3, 31, v2
	s_addc_u32 s22, s23, s3
	v_bfe_u32 v15, v0, 10, 10
	v_lshlrev_b64 v[0:1], 3, v[2:3]
	s_load_dword s6, s[4:5], 0x84
	v_cmp_gt_i32_e64 s[2:3], s13, v2
	v_mov_b32_e32 v2, s22
	v_add_co_u32_e32 v16, vcc, s12, v0
	s_cmp_gt_i32 s14, 0
	v_addc_co_u32_e32 v17, vcc, v2, v1, vcc
	v_lshlrev_b32_e32 v2, 3, v15
	v_lshlrev_b32_e32 v18, 8, v14
	v_add_co_u32_e32 v22, vcc, s8, v0
	v_lshl_add_u32 v0, s7, 5, v15
	s_cselect_b64 s[4:5], -1, 0
	v_add_u32_e32 v19, v18, v2
	v_or_b32_e32 v20, 0x2000, v2
	v_mov_b32_e32 v2, s9
	v_sub_u32_e32 v24, 0, v0
	v_cndmask_b32_e64 v0, 0, 1, s[4:5]
	v_add_u32_e32 v21, v20, v18
	v_addc_co_u32_e32 v23, vcc, v2, v1, vcc
	s_waitcnt lgkmcnt(0)
	s_lshl_b32 s28, s6, 5
	v_cmp_ne_u32_e64 s[4:5], 1, v0
	s_branch .LBB59_4
.LBB59_3:                               ;   in Loop: Header=BB59_4 Depth=1
	s_add_i32 s7, s7, s6
	s_cmp_gt_i32 s7, s26
	v_subrev_u32_e32 v24, s28, v24
	s_cbranch_scc1 .LBB59_21
.LBB59_4:                               ; =>This Loop Header: Depth=1
                                        ;     Child Loop BB59_7 Depth 2
	s_and_b64 vcc, exec, s[4:5]
	s_cbranch_vccnz .LBB59_3
; %bb.5:                                ;   in Loop: Header=BB59_4 Depth=1
	v_lshl_add_u32 v8, s7, 5, v15
	v_ashrrev_i32_e32 v9, 31, v8
	v_mul_lo_u32 v2, v9, s16
	v_mul_lo_u32 v3, v8, s17
	v_mad_u64_u32 v[0:1], s[8:9], v8, s16, 0
	v_add3_u32 v1, v1, v3, v2
	v_lshlrev_b64 v[0:1], 3, v[0:1]
	v_mov_b32_e32 v2, s27
	v_add_co_u32_e32 v25, vcc, s15, v0
	v_addc_co_u32_e32 v26, vcc, v2, v1, vcc
	v_lshlrev_b64 v[0:1], 3, v[8:9]
	v_add_co_u32_e32 v27, vcc, s15, v0
	v_addc_co_u32_e32 v28, vcc, v2, v1, vcc
	v_mul_lo_u32 v4, v9, s20
	v_mul_lo_u32 v5, v8, s21
	v_mad_u64_u32 v[2:3], s[8:9], v8, s20, 0
	v_add3_u32 v3, v3, v5, v4
	v_cmp_gt_i32_e32 vcc, s14, v8
	v_lshlrev_b64 v[2:3], 3, v[2:3]
	s_and_b64 s[12:13], s[2:3], vcc
	v_add_co_u32_e32 v10, vcc, v22, v2
	v_addc_co_u32_e32 v11, vcc, v23, v3, vcc
	v_add_co_u32_e32 v12, vcc, v25, v0
	v_addc_co_u32_e32 v13, vcc, v26, v1, vcc
	v_add_u32_e32 v9, v14, v24
	s_mov_b32 s29, 0
	s_branch .LBB59_7
.LBB59_6:                               ;   in Loop: Header=BB59_7 Depth=2
	s_or_b64 exec, exec, s[8:9]
	s_add_i32 s29, s29, 32
	s_cmp_ge_i32 s29, s14
	s_barrier
	s_cbranch_scc1 .LBB59_3
.LBB59_7:                               ;   Parent Loop BB59_4 Depth=1
                                        ; =>  This Inner Loop Header: Depth=2
	v_add_u32_e32 v1, s29, v15
	v_cmp_gt_i32_e32 vcc, s14, v1
	s_and_b64 s[22:23], s[2:3], vcc
	v_mov_b32_e32 v0, 0
	v_mov_b32_e32 v2, 0
	;; [unrolled: 1-line block ×3, first 2 shown]
	s_and_saveexec_b64 s[8:9], s[22:23]
	s_cbranch_execz .LBB59_9
; %bb.8:                                ;   in Loop: Header=BB59_7 Depth=2
	v_ashrrev_i32_e32 v2, 31, v1
	v_mul_lo_u32 v4, v1, s19
	v_mul_lo_u32 v5, v2, s18
	v_mad_u64_u32 v[2:3], s[22:23], v1, s18, 0
	v_add3_u32 v3, v3, v4, v5
	v_lshlrev_b64 v[2:3], 3, v[2:3]
	v_add_co_u32_e32 v2, vcc, v16, v2
	v_addc_co_u32_e32 v3, vcc, v17, v3, vcc
	global_load_dwordx2 v[2:3], v[2:3], off
.LBB59_9:                               ;   in Loop: Header=BB59_7 Depth=2
	s_or_b64 exec, exec, s[8:9]
	s_waitcnt vmcnt(0)
	ds_write_b64 v19, v[2:3]
	v_add_u32_e32 v2, s29, v14
	v_cndmask_b32_e64 v1, v8, v2, s[0:1]
	v_cndmask_b32_e64 v3, v2, v8, s[0:1]
	v_cmp_gt_i32_e64 s[8:9], v1, v3
	v_cmp_le_i32_e32 vcc, v1, v3
	v_cndmask_b32_e64 v1, v2, v8, s[8:9]
	v_cndmask_b32_e64 v3, v8, v2, s[8:9]
	v_max_i32_e32 v1, v1, v3
	v_cmp_gt_i32_e64 s[8:9], s14, v1
	v_mov_b32_e32 v1, 0
	s_and_saveexec_b64 s[22:23], s[8:9]
	s_cbranch_execz .LBB59_19
; %bb.10:                               ;   in Loop: Header=BB59_7 Depth=2
                                        ; implicit-def: $vgpr1
	s_and_saveexec_b64 s[8:9], vcc
	s_xor_b64 s[8:9], exec, s[8:9]
	s_cbranch_execz .LBB59_16
; %bb.11:                               ;   in Loop: Header=BB59_7 Depth=2
	v_add_u32_e32 v0, s29, v9
	v_cmp_ne_u32_e32 vcc, 0, v0
                                        ; implicit-def: $vgpr1
	s_and_saveexec_b64 s[24:25], vcc
	s_xor_b64 s[24:25], exec, s[24:25]
	s_cbranch_execz .LBB59_13
; %bb.12:                               ;   in Loop: Header=BB59_7 Depth=2
	v_ashrrev_i32_e32 v3, 31, v2
	v_lshlrev_b64 v[0:1], 3, v[2:3]
	v_add_co_u32_e32 v0, vcc, v25, v0
	v_addc_co_u32_e32 v1, vcc, v26, v1, vcc
	global_load_dwordx2 v[0:1], v[0:1], off
.LBB59_13:                              ;   in Loop: Header=BB59_7 Depth=2
	s_andn2_saveexec_b64 s[24:25], s[24:25]
	s_cbranch_execz .LBB59_15
; %bb.14:                               ;   in Loop: Header=BB59_7 Depth=2
	global_load_dword v0, v[12:13], off
	s_waitcnt vmcnt(1)
	v_mov_b32_e32 v1, 0
.LBB59_15:                              ;   in Loop: Header=BB59_7 Depth=2
	s_or_b64 exec, exec, s[24:25]
                                        ; implicit-def: $vgpr2
.LBB59_16:                              ;   in Loop: Header=BB59_7 Depth=2
	s_andn2_saveexec_b64 s[8:9], s[8:9]
	s_cbranch_execz .LBB59_18
; %bb.17:                               ;   in Loop: Header=BB59_7 Depth=2
	s_waitcnt vmcnt(0)
	v_ashrrev_i32_e32 v0, 31, v2
	v_mul_lo_u32 v3, v2, s17
	v_mul_lo_u32 v4, v0, s16
	v_mad_u64_u32 v[0:1], s[24:25], v2, s16, 0
	v_add3_u32 v1, v1, v3, v4
	v_lshlrev_b64 v[0:1], 3, v[0:1]
	v_add_co_u32_e32 v0, vcc, v27, v0
	v_addc_co_u32_e32 v1, vcc, v28, v1, vcc
	global_load_dwordx2 v[0:1], v[0:1], off
	s_waitcnt vmcnt(0)
	v_xor_b32_e32 v1, 0x80000000, v1
.LBB59_18:                              ;   in Loop: Header=BB59_7 Depth=2
	s_or_b64 exec, exec, s[8:9]
.LBB59_19:                              ;   in Loop: Header=BB59_7 Depth=2
	s_or_b64 exec, exec, s[22:23]
	s_waitcnt vmcnt(0)
	ds_write_b64 v21, v[0:1]
	s_waitcnt lgkmcnt(0)
	s_barrier
	s_and_saveexec_b64 s[8:9], s[12:13]
	s_cbranch_execz .LBB59_6
; %bb.20:                               ;   in Loop: Header=BB59_7 Depth=2
	ds_read2_b64 v[0:3], v20 offset1:32
	ds_read_b128 v[4:7], v18
	ds_read_b128 v[30:33], v18 offset:16
	ds_read_b128 v[34:37], v18 offset:32
	;; [unrolled: 1-line block ×3, first 2 shown]
	ds_read2_b64 v[42:45], v20 offset0:64 offset1:96
	s_waitcnt lgkmcnt(4)
	v_mul_f32_e32 v29, v1, v5
	v_fma_f32 v29, v0, v4, -v29
	v_mul_f32_e32 v0, v0, v5
	v_fmac_f32_e32 v0, v1, v4
	v_mul_f32_e32 v4, v3, v7
	v_fma_f32 v4, v2, v6, -v4
	v_mul_f32_e32 v2, v2, v7
	v_add_f32_e32 v0, 0, v0
	v_fmac_f32_e32 v2, v3, v6
	s_waitcnt lgkmcnt(0)
	v_mul_f32_e32 v3, v42, v31
	v_add_f32_e32 v1, 0, v29
	v_add_f32_e32 v0, v0, v2
	v_mul_f32_e32 v2, v43, v31
	v_fmac_f32_e32 v3, v43, v30
	v_add_f32_e32 v1, v1, v4
	v_fma_f32 v2, v42, v30, -v2
	v_add_f32_e32 v5, v0, v3
	v_mul_f32_e32 v0, v45, v33
	v_add_f32_e32 v4, v1, v2
	v_fma_f32 v6, v44, v32, -v0
	ds_read2_b64 v[0:3], v20 offset0:128 offset1:160
	v_mul_f32_e32 v7, v44, v33
	v_add_f32_e32 v4, v4, v6
	v_fmac_f32_e32 v7, v45, v32
	v_add_f32_e32 v5, v5, v7
	s_waitcnt lgkmcnt(0)
	v_mul_f32_e32 v6, v1, v35
	v_fma_f32 v6, v0, v34, -v6
	v_mul_f32_e32 v0, v0, v35
	v_fmac_f32_e32 v0, v1, v34
	v_add_f32_e32 v1, v4, v6
	v_mul_f32_e32 v4, v3, v37
	v_add_f32_e32 v0, v5, v0
	v_fma_f32 v29, v2, v36, -v4
	ds_read2_b64 v[4:7], v20 offset0:192 offset1:224
	v_mul_f32_e32 v2, v2, v37
	v_fmac_f32_e32 v2, v3, v36
	v_add_f32_e32 v0, v0, v2
	v_add_f32_e32 v1, v1, v29
	s_waitcnt lgkmcnt(0)
	v_mul_f32_e32 v3, v4, v39
	v_mul_f32_e32 v2, v5, v39
	v_fmac_f32_e32 v3, v5, v38
	v_fma_f32 v2, v4, v38, -v2
	v_add_f32_e32 v5, v0, v3
	v_mul_f32_e32 v0, v7, v41
	v_add_u32_e32 v38, 0x800, v20
	v_add_f32_e32 v4, v1, v2
	v_fma_f32 v29, v6, v40, -v0
	ds_read2_b64 v[0:3], v38 offset1:32
	ds_read_b128 v[30:33], v18 offset:64
	v_mul_f32_e32 v6, v6, v41
	v_fmac_f32_e32 v6, v7, v40
	v_add_f32_e32 v29, v4, v29
	v_add_f32_e32 v34, v5, v6
	s_waitcnt lgkmcnt(0)
	v_mul_f32_e32 v35, v1, v31
	v_fma_f32 v35, v0, v30, -v35
	v_mul_f32_e32 v0, v0, v31
	v_fmac_f32_e32 v0, v1, v30
	ds_read_b128 v[4:7], v18 offset:80
	v_add_f32_e32 v1, v29, v35
	v_add_f32_e32 v0, v34, v0
	ds_read2_b64 v[34:37], v38 offset0:64 offset1:96
	v_mul_f32_e32 v29, v3, v33
	v_fma_f32 v29, v2, v32, -v29
	v_mul_f32_e32 v2, v2, v33
	v_fmac_f32_e32 v2, v3, v32
	s_waitcnt lgkmcnt(0)
	v_mul_f32_e32 v3, v34, v5
	v_add_f32_e32 v0, v0, v2
	v_mul_f32_e32 v2, v35, v5
	v_fmac_f32_e32 v3, v35, v4
	v_add_f32_e32 v1, v1, v29
	v_fma_f32 v2, v34, v4, -v2
	v_add_f32_e32 v5, v0, v3
	v_mul_f32_e32 v0, v37, v7
	v_add_f32_e32 v4, v1, v2
	v_fma_f32 v29, v36, v6, -v0
	ds_read2_b64 v[0:3], v38 offset0:128 offset1:160
	ds_read_b128 v[30:33], v18 offset:96
	v_mul_f32_e32 v7, v36, v7
	v_fmac_f32_e32 v7, v37, v6
	v_add_f32_e32 v29, v4, v29
	v_add_f32_e32 v34, v5, v7
	s_waitcnt lgkmcnt(0)
	v_mul_f32_e32 v35, v1, v31
	v_fma_f32 v35, v0, v30, -v35
	v_mul_f32_e32 v0, v0, v31
	v_fmac_f32_e32 v0, v1, v30
	ds_read_b128 v[4:7], v18 offset:112
	v_add_f32_e32 v1, v29, v35
	v_add_f32_e32 v0, v34, v0
	ds_read2_b64 v[34:37], v38 offset0:192 offset1:224
	v_mul_f32_e32 v29, v3, v33
	v_fma_f32 v29, v2, v32, -v29
	v_mul_f32_e32 v2, v2, v33
	v_fmac_f32_e32 v2, v3, v32
	s_waitcnt lgkmcnt(0)
	v_mul_f32_e32 v3, v34, v5
	v_add_f32_e32 v0, v0, v2
	v_mul_f32_e32 v2, v35, v5
	v_fmac_f32_e32 v3, v35, v4
	v_add_f32_e32 v1, v1, v29
	v_fma_f32 v2, v34, v4, -v2
	v_add_f32_e32 v5, v0, v3
	v_mul_f32_e32 v0, v37, v7
	v_add_u32_e32 v42, 0x1000, v20
	v_add_f32_e32 v4, v1, v2
	v_fma_f32 v29, v36, v6, -v0
	ds_read2_b64 v[0:3], v42 offset1:32
	ds_read_b128 v[30:33], v18 offset:128
	v_mul_f32_e32 v7, v36, v7
	v_fmac_f32_e32 v7, v37, v6
	ds_read_b128 v[34:37], v18 offset:144
	ds_read2_b64 v[38:41], v42 offset0:64 offset1:96
	s_waitcnt lgkmcnt(2)
	v_mul_f32_e32 v6, v1, v31
	v_add_f32_e32 v4, v4, v29
	v_fma_f32 v6, v0, v30, -v6
	v_mul_f32_e32 v0, v0, v31
	v_fmac_f32_e32 v0, v1, v30
	v_add_f32_e32 v1, v4, v6
	v_mul_f32_e32 v4, v3, v33
	v_add_f32_e32 v5, v5, v7
	v_fma_f32 v4, v2, v32, -v4
	v_mul_f32_e32 v2, v2, v33
	v_add_f32_e32 v0, v5, v0
	v_fmac_f32_e32 v2, v3, v32
	s_waitcnt lgkmcnt(0)
	v_mul_f32_e32 v3, v38, v35
	v_add_f32_e32 v0, v0, v2
	v_mul_f32_e32 v2, v39, v35
	v_fmac_f32_e32 v3, v39, v34
	v_add_f32_e32 v1, v1, v4
	v_fma_f32 v2, v38, v34, -v2
	v_add_f32_e32 v30, v0, v3
	v_mul_f32_e32 v0, v41, v37
	v_add_f32_e32 v29, v1, v2
	v_fma_f32 v31, v40, v36, -v0
	ds_read2_b64 v[0:3], v42 offset0:128 offset1:160
	ds_read_b128 v[4:7], v18 offset:160
	global_load_dwordx2 v[38:39], v[10:11], off
	v_mul_f32_e32 v32, v40, v37
	v_fmac_f32_e32 v32, v41, v36
	v_add_f32_e32 v29, v29, v31
	s_waitcnt lgkmcnt(0)
	v_mul_f32_e32 v35, v1, v5
	v_fma_f32 v35, v0, v4, -v35
	v_mul_f32_e32 v0, v0, v5
	v_add_f32_e32 v34, v30, v32
	v_fmac_f32_e32 v0, v1, v4
	ds_read_b128 v[30:33], v18 offset:176
	v_add_f32_e32 v1, v29, v35
	v_add_f32_e32 v0, v34, v0
	ds_read2_b64 v[34:37], v42 offset0:192 offset1:224
	v_mul_f32_e32 v4, v3, v7
	v_fma_f32 v4, v2, v6, -v4
	v_mul_f32_e32 v2, v2, v7
	v_fmac_f32_e32 v2, v3, v6
	s_waitcnt lgkmcnt(0)
	v_mul_f32_e32 v3, v34, v31
	v_add_f32_e32 v0, v0, v2
	v_mul_f32_e32 v2, v35, v31
	v_fmac_f32_e32 v3, v35, v30
	v_add_f32_e32 v1, v1, v4
	v_fma_f32 v2, v34, v30, -v2
	v_add_f32_e32 v30, v0, v3
	v_mul_f32_e32 v0, v37, v33
	v_add_u32_e32 v40, 0x1800, v20
	v_add_f32_e32 v29, v1, v2
	v_fma_f32 v31, v36, v32, -v0
	ds_read2_b64 v[0:3], v40 offset1:32
	ds_read_b128 v[4:7], v18 offset:192
	v_mul_f32_e32 v33, v36, v33
	v_fmac_f32_e32 v33, v37, v32
	v_add_f32_e32 v29, v29, v31
	v_add_f32_e32 v34, v30, v33
	s_waitcnt lgkmcnt(0)
	v_mul_f32_e32 v35, v1, v5
	v_fma_f32 v35, v0, v4, -v35
	v_mul_f32_e32 v0, v0, v5
	v_fmac_f32_e32 v0, v1, v4
	ds_read_b128 v[30:33], v18 offset:208
	v_add_f32_e32 v1, v29, v35
	v_add_f32_e32 v0, v34, v0
	ds_read2_b64 v[34:37], v40 offset0:64 offset1:96
	v_mul_f32_e32 v4, v3, v7
	v_fma_f32 v4, v2, v6, -v4
	v_mul_f32_e32 v2, v2, v7
	v_fmac_f32_e32 v2, v3, v6
	s_waitcnt lgkmcnt(0)
	v_mul_f32_e32 v3, v34, v31
	v_add_f32_e32 v0, v0, v2
	v_mul_f32_e32 v2, v35, v31
	v_fmac_f32_e32 v3, v35, v30
	v_add_f32_e32 v1, v1, v4
	v_fma_f32 v2, v34, v30, -v2
	v_add_f32_e32 v30, v0, v3
	v_mul_f32_e32 v0, v37, v33
	v_add_f32_e32 v29, v1, v2
	v_fma_f32 v31, v36, v32, -v0
	ds_read2_b64 v[0:3], v40 offset0:128 offset1:160
	ds_read_b128 v[4:7], v18 offset:224
	v_mul_f32_e32 v33, v36, v33
	v_fmac_f32_e32 v33, v37, v32
	v_add_f32_e32 v29, v29, v31
	v_add_f32_e32 v34, v30, v33
	s_waitcnt lgkmcnt(0)
	v_mul_f32_e32 v35, v1, v5
	v_fma_f32 v35, v0, v4, -v35
	v_mul_f32_e32 v0, v0, v5
	v_fmac_f32_e32 v0, v1, v4
	ds_read_b128 v[30:33], v18 offset:240
	v_add_f32_e32 v1, v29, v35
	v_add_f32_e32 v0, v34, v0
	ds_read2_b64 v[34:37], v40 offset0:192 offset1:224
	v_mul_f32_e32 v4, v3, v7
	v_fma_f32 v4, v2, v6, -v4
	v_mul_f32_e32 v2, v2, v7
	v_fmac_f32_e32 v2, v3, v6
	v_add_f32_e32 v0, v0, v2
	s_waitcnt lgkmcnt(0)
	v_mul_f32_e32 v2, v35, v31
	v_mul_f32_e32 v3, v34, v31
	v_add_f32_e32 v1, v1, v4
	v_fma_f32 v2, v34, v30, -v2
	v_fmac_f32_e32 v3, v35, v30
	v_add_f32_e32 v1, v1, v2
	v_add_f32_e32 v2, v0, v3
	v_mul_f32_e32 v3, v36, v33
	v_mul_f32_e32 v0, v37, v33
	v_fmac_f32_e32 v3, v37, v32
	v_fma_f32 v0, v36, v32, -v0
	v_add_f32_e32 v2, v2, v3
	v_add_f32_e32 v0, v1, v0
	v_pk_mul_f32 v[2:3], s[10:11], v[2:3] op_sel_hi:[1,0]
	v_pk_fma_f32 v[4:5], s[10:11], v[0:1], v[2:3] op_sel:[0,0,1] op_sel_hi:[1,1,0] neg_lo:[0,0,1] neg_hi:[0,0,1]
	v_pk_fma_f32 v[0:1], s[10:11], v[0:1], v[2:3] op_sel:[0,0,1] op_sel_hi:[1,0,0]
	v_mov_b32_e32 v5, v1
	s_waitcnt vmcnt(0)
	v_pk_add_f32 v[0:1], v[38:39], v[4:5]
	global_store_dwordx2 v[10:11], v[0:1], off
	s_branch .LBB59_6
.LBB59_21:
	s_endpgm
	.section	.rodata,"a",@progbits
	.p2align	6, 0x0
	.amdhsa_kernel _ZL24rocblas_symm_hemm_kernelILb1ELb1ELi32E19rocblas_complex_numIfEPKPKS1_PKPS1_EvbiiT2_T3_lllSA_lllT4_llli
		.amdhsa_group_segment_fixed_size 16384
		.amdhsa_private_segment_fixed_size 0
		.amdhsa_kernarg_size 384
		.amdhsa_user_sgpr_count 6
		.amdhsa_user_sgpr_private_segment_buffer 1
		.amdhsa_user_sgpr_dispatch_ptr 0
		.amdhsa_user_sgpr_queue_ptr 0
		.amdhsa_user_sgpr_kernarg_segment_ptr 1
		.amdhsa_user_sgpr_dispatch_id 0
		.amdhsa_user_sgpr_flat_scratch_init 0
		.amdhsa_user_sgpr_kernarg_preload_length 0
		.amdhsa_user_sgpr_kernarg_preload_offset 0
		.amdhsa_user_sgpr_private_segment_size 0
		.amdhsa_uses_dynamic_stack 0
		.amdhsa_system_sgpr_private_segment_wavefront_offset 0
		.amdhsa_system_sgpr_workgroup_id_x 1
		.amdhsa_system_sgpr_workgroup_id_y 1
		.amdhsa_system_sgpr_workgroup_id_z 1
		.amdhsa_system_sgpr_workgroup_info 0
		.amdhsa_system_vgpr_workitem_id 1
		.amdhsa_next_free_vgpr 46
		.amdhsa_next_free_sgpr 40
		.amdhsa_accum_offset 48
		.amdhsa_reserve_vcc 1
		.amdhsa_reserve_flat_scratch 0
		.amdhsa_float_round_mode_32 0
		.amdhsa_float_round_mode_16_64 0
		.amdhsa_float_denorm_mode_32 3
		.amdhsa_float_denorm_mode_16_64 3
		.amdhsa_dx10_clamp 1
		.amdhsa_ieee_mode 1
		.amdhsa_fp16_overflow 0
		.amdhsa_tg_split 0
		.amdhsa_exception_fp_ieee_invalid_op 0
		.amdhsa_exception_fp_denorm_src 0
		.amdhsa_exception_fp_ieee_div_zero 0
		.amdhsa_exception_fp_ieee_overflow 0
		.amdhsa_exception_fp_ieee_underflow 0
		.amdhsa_exception_fp_ieee_inexact 0
		.amdhsa_exception_int_div_zero 0
	.end_amdhsa_kernel
	.section	.text._ZL24rocblas_symm_hemm_kernelILb1ELb1ELi32E19rocblas_complex_numIfEPKPKS1_PKPS1_EvbiiT2_T3_lllSA_lllT4_llli,"axG",@progbits,_ZL24rocblas_symm_hemm_kernelILb1ELb1ELi32E19rocblas_complex_numIfEPKPKS1_PKPS1_EvbiiT2_T3_lllSA_lllT4_llli,comdat
.Lfunc_end59:
	.size	_ZL24rocblas_symm_hemm_kernelILb1ELb1ELi32E19rocblas_complex_numIfEPKPKS1_PKPS1_EvbiiT2_T3_lllSA_lllT4_llli, .Lfunc_end59-_ZL24rocblas_symm_hemm_kernelILb1ELb1ELi32E19rocblas_complex_numIfEPKPKS1_PKPS1_EvbiiT2_T3_lllSA_lllT4_llli
                                        ; -- End function
	.section	.AMDGPU.csdata,"",@progbits
; Kernel info:
; codeLenInByte = 2280
; NumSgprs: 44
; NumVgprs: 46
; NumAgprs: 0
; TotalNumVgprs: 46
; ScratchSize: 0
; MemoryBound: 0
; FloatMode: 240
; IeeeMode: 1
; LDSByteSize: 16384 bytes/workgroup (compile time only)
; SGPRBlocks: 5
; VGPRBlocks: 5
; NumSGPRsForWavesPerEU: 44
; NumVGPRsForWavesPerEU: 46
; AccumOffset: 48
; Occupancy: 8
; WaveLimiterHint : 1
; COMPUTE_PGM_RSRC2:SCRATCH_EN: 0
; COMPUTE_PGM_RSRC2:USER_SGPR: 6
; COMPUTE_PGM_RSRC2:TRAP_HANDLER: 0
; COMPUTE_PGM_RSRC2:TGID_X_EN: 1
; COMPUTE_PGM_RSRC2:TGID_Y_EN: 1
; COMPUTE_PGM_RSRC2:TGID_Z_EN: 1
; COMPUTE_PGM_RSRC2:TIDIG_COMP_CNT: 1
; COMPUTE_PGM_RSRC3_GFX90A:ACCUM_OFFSET: 11
; COMPUTE_PGM_RSRC3_GFX90A:TG_SPLIT: 0
	.section	.text._ZL24rocblas_symm_hemm_kernelILb1ELb0ELi32EPK19rocblas_complex_numIdEPKS3_PKPS1_EvbiiT2_T3_lllSA_lllT4_llli,"axG",@progbits,_ZL24rocblas_symm_hemm_kernelILb1ELb0ELi32EPK19rocblas_complex_numIdEPKS3_PKPS1_EvbiiT2_T3_lllSA_lllT4_llli,comdat
	.globl	_ZL24rocblas_symm_hemm_kernelILb1ELb0ELi32EPK19rocblas_complex_numIdEPKS3_PKPS1_EvbiiT2_T3_lllSA_lllT4_llli ; -- Begin function _ZL24rocblas_symm_hemm_kernelILb1ELb0ELi32EPK19rocblas_complex_numIdEPKS3_PKPS1_EvbiiT2_T3_lllSA_lllT4_llli
	.p2align	8
	.type	_ZL24rocblas_symm_hemm_kernelILb1ELb0ELi32EPK19rocblas_complex_numIdEPKS3_PKPS1_EvbiiT2_T3_lllSA_lllT4_llli,@function
_ZL24rocblas_symm_hemm_kernelILb1ELb0ELi32EPK19rocblas_complex_numIdEPKS3_PKPS1_EvbiiT2_T3_lllSA_lllT4_llli: ; @_ZL24rocblas_symm_hemm_kernelILb1ELb0ELi32EPK19rocblas_complex_numIdEPKS3_PKPS1_EvbiiT2_T3_lllSA_lllT4_llli
; %bb.0:
	s_load_dwordx8 s[12:19], s[4:5], 0x10
	s_waitcnt lgkmcnt(0)
	s_load_dwordx4 s[20:23], s[12:13], 0x0
	s_waitcnt lgkmcnt(0)
	v_cmp_eq_f64_e64 s[0:1], s[20:21], 0
	v_cmp_eq_f64_e64 s[2:3], s[22:23], 0
	s_and_b64 s[0:1], s[0:1], s[2:3]
	s_and_b64 vcc, exec, s[0:1]
	s_cbranch_vccnz .LBB60_21
; %bb.1:
	s_load_dwordx4 s[24:27], s[4:5], 0x0
	s_waitcnt lgkmcnt(0)
	s_add_i32 s0, s26, -1
	s_ashr_i32 s1, s0, 31
	s_lshr_b32 s1, s1, 27
	s_add_i32 s0, s0, s1
	s_ashr_i32 s27, s0, 5
	s_cmp_gt_i32 s7, s27
	s_cbranch_scc1 .LBB60_21
; %bb.2:
	s_load_dwordx4 s[0:3], s[4:5], 0x38
	s_load_dwordx2 s[10:11], s[4:5], 0x48
	s_mov_b32 s9, 0
	s_lshl_b64 s[8:9], s[8:9], 3
	s_add_u32 s14, s14, s8
	s_addc_u32 s15, s15, s9
	s_waitcnt lgkmcnt(0)
	s_add_u32 s0, s0, s8
	s_addc_u32 s1, s1, s9
	s_load_dwordx2 s[34:35], s[0:1], 0x0
	s_load_dwordx4 s[28:31], s[4:5], 0x58
	s_load_dwordx2 s[12:13], s[4:5], 0x68
	s_lshl_b64 s[0:1], s[2:3], 4
	v_and_b32_e32 v28, 0x3ff, v0
	s_waitcnt lgkmcnt(0)
	s_add_u32 s33, s34, s0
	s_addc_u32 s34, s35, s1
	s_add_u32 s0, s28, s8
	s_addc_u32 s1, s29, s9
	s_load_dwordx2 s[2:3], s[0:1], 0x0
	s_load_dwordx2 s[8:9], s[14:15], 0x0
	s_bitcmp1_b32 s24, 0
	s_cselect_b64 s[0:1], -1, 0
	s_lshl_b64 s[14:15], s[30:31], 4
	s_waitcnt lgkmcnt(0)
	s_add_u32 s14, s2, s14
	s_addc_u32 s15, s3, s15
	s_lshl_b64 s[2:3], s[16:17], 4
	v_lshl_add_u32 v16, s6, 5, v28
	s_add_u32 s8, s8, s2
	v_ashrrev_i32_e32 v17, 31, v16
	s_addc_u32 s9, s9, s3
	v_bfe_u32 v29, v0, 10, 10
	v_lshlrev_b64 v[0:1], 4, v[16:17]
	v_mov_b32_e32 v2, s9
	v_add_co_u32_e32 v30, vcc, s8, v0
	v_addc_co_u32_e32 v31, vcc, v2, v1, vcc
	v_mul_lo_u32 v4, v17, s18
	v_mul_lo_u32 v5, v16, s19
	v_mad_u64_u32 v[2:3], s[2:3], v16, s18, 0
	v_add3_u32 v3, v3, v5, v4
	v_lshlrev_b64 v[2:3], 4, v[2:3]
	v_mov_b32_e32 v4, s9
	v_add_co_u32_e32 v17, vcc, s8, v2
	v_addc_co_u32_e32 v32, vcc, v4, v3, vcc
	v_lshlrev_b32_e32 v4, 4, v29
	v_lshlrev_b32_e32 v33, 9, v28
	s_load_dword s6, s[4:5], 0x84
	v_add_u32_e32 v34, v33, v4
	v_or_b32_e32 v35, 0x4000, v4
	v_mov_b32_e32 v4, s15
	v_add_co_u32_e32 v37, vcc, s14, v0
	v_addc_co_u32_e32 v38, vcc, v4, v1, vcc
	s_cmp_gt_i32 s25, 0
	v_add_co_u32_e32 v18, vcc, v30, v2
	v_add_u32_e32 v36, v35, v33
	v_cmp_gt_i32_e64 s[2:3], s25, v16
	v_addc_co_u32_e32 v19, vcc, v31, v3, vcc
	s_cselect_b64 s[14:15], -1, 0
	s_branch .LBB60_4
.LBB60_3:                               ;   in Loop: Header=BB60_4 Depth=1
	s_waitcnt lgkmcnt(0)
	s_add_i32 s7, s7, s6
	s_cmp_gt_i32 s7, s27
	s_cbranch_scc1 .LBB60_21
.LBB60_4:                               ; =>This Loop Header: Depth=1
                                        ;     Child Loop BB60_7 Depth 2
	s_andn2_b64 vcc, exec, s[14:15]
	s_cbranch_vccnz .LBB60_3
; %bb.5:                                ;   in Loop: Header=BB60_4 Depth=1
	v_lshl_add_u32 v2, s7, 5, v29
	v_ashrrev_i32_e32 v3, 31, v2
	v_mul_lo_u32 v4, v3, s10
	v_mul_lo_u32 v5, v2, s11
	v_mad_u64_u32 v[0:1], s[4:5], v2, s10, 0
	v_add3_u32 v1, v1, v5, v4
	v_lshlrev_b64 v[0:1], 4, v[0:1]
	v_mov_b32_e32 v4, s34
	v_add_co_u32_e64 v39, s[4:5], s33, v0
	v_addc_co_u32_e64 v40, s[4:5], v4, v1, s[4:5]
	v_mul_lo_u32 v3, v3, s12
	v_mul_lo_u32 v4, v2, s13
	v_mad_u64_u32 v[0:1], s[4:5], v2, s12, 0
	v_add3_u32 v1, v1, v4, v3
	v_lshlrev_b64 v[0:1], 4, v[0:1]
	v_cmp_gt_i32_e32 vcc, s26, v2
	v_add_co_u32_e64 v20, s[4:5], v37, v0
	s_and_b64 s[16:17], s[2:3], vcc
	v_addc_co_u32_e64 v21, s[4:5], v38, v1, s[4:5]
	s_mov_b32 s24, 0
	s_branch .LBB60_7
.LBB60_6:                               ;   in Loop: Header=BB60_7 Depth=2
	s_or_b64 exec, exec, s[4:5]
	s_add_i32 s24, s24, 32
	s_cmp_ge_i32 s24, s25
	s_barrier
	s_cbranch_scc1 .LBB60_3
.LBB60_7:                               ;   Parent Loop BB60_4 Depth=1
                                        ; =>  This Inner Loop Header: Depth=2
	v_add_u32_e32 v6, s24, v29
	v_cndmask_b32_e64 v0, v6, v16, s[0:1]
	v_cndmask_b32_e64 v1, v16, v6, s[0:1]
	v_cmp_gt_i32_e64 s[8:9], v0, v1
	v_cmp_le_i32_e64 s[4:5], v0, v1
	v_cndmask_b32_e64 v0, v16, v6, s[8:9]
	v_cndmask_b32_e64 v1, v6, v16, s[8:9]
	v_max_i32_e32 v0, v0, v1
	v_cmp_gt_i32_e64 s[8:9], s25, v0
	v_pk_mov_b32 v[0:1], 0, 0
	v_pk_mov_b32 v[2:3], v[0:1], v[0:1] op_sel:[0,1]
	v_pk_mov_b32 v[4:5], v[0:1], v[0:1] op_sel:[0,1]
	s_and_saveexec_b64 s[28:29], s[8:9]
	s_cbranch_execz .LBB60_17
; %bb.8:                                ;   in Loop: Header=BB60_7 Depth=2
                                        ; implicit-def: $vgpr4_vgpr5
	s_and_saveexec_b64 s[8:9], s[4:5]
	s_xor_b64 s[8:9], exec, s[8:9]
	s_cbranch_execz .LBB60_14
; %bb.9:                                ;   in Loop: Header=BB60_7 Depth=2
	v_cmp_ne_u32_e64 s[4:5], v6, v16
                                        ; implicit-def: $vgpr4_vgpr5
	s_and_saveexec_b64 s[30:31], s[4:5]
	s_xor_b64 s[30:31], exec, s[30:31]
	s_cbranch_execz .LBB60_11
; %bb.10:                               ;   in Loop: Header=BB60_7 Depth=2
	v_ashrrev_i32_e32 v2, 31, v6
	v_mul_lo_u32 v4, v6, s19
	v_mul_lo_u32 v5, v2, s18
	v_mad_u64_u32 v[2:3], s[4:5], v6, s18, 0
	v_add3_u32 v3, v3, v4, v5
	v_lshlrev_b64 v[2:3], 4, v[2:3]
	v_add_co_u32_e64 v2, s[4:5], v30, v2
	v_addc_co_u32_e64 v3, s[4:5], v31, v3, s[4:5]
	global_load_dwordx4 v[2:5], v[2:3], off
.LBB60_11:                              ;   in Loop: Header=BB60_7 Depth=2
	s_andn2_saveexec_b64 s[4:5], s[30:31]
	s_cbranch_execz .LBB60_13
; %bb.12:                               ;   in Loop: Header=BB60_7 Depth=2
	global_load_dwordx2 v[2:3], v[18:19], off
	s_waitcnt vmcnt(1)
	v_pk_mov_b32 v[4:5], 0, 0
.LBB60_13:                              ;   in Loop: Header=BB60_7 Depth=2
	s_or_b64 exec, exec, s[4:5]
                                        ; implicit-def: $vgpr6
.LBB60_14:                              ;   in Loop: Header=BB60_7 Depth=2
	s_andn2_saveexec_b64 s[8:9], s[8:9]
	s_cbranch_execz .LBB60_16
; %bb.15:                               ;   in Loop: Header=BB60_7 Depth=2
	v_ashrrev_i32_e32 v7, 31, v6
	s_waitcnt vmcnt(0)
	v_lshlrev_b64 v[2:3], 4, v[6:7]
	v_add_co_u32_e64 v2, s[4:5], v17, v2
	v_addc_co_u32_e64 v3, s[4:5], v32, v3, s[4:5]
	global_load_dwordx4 v[2:5], v[2:3], off
	s_waitcnt vmcnt(0)
	v_xor_b32_e32 v5, 0x80000000, v5
.LBB60_16:                              ;   in Loop: Header=BB60_7 Depth=2
	s_or_b64 exec, exec, s[8:9]
.LBB60_17:                              ;   in Loop: Header=BB60_7 Depth=2
	s_or_b64 exec, exec, s[28:29]
	s_waitcnt vmcnt(0)
	ds_write_b128 v34, v[2:5]
	v_add_u32_e32 v4, s24, v28
	v_cmp_gt_i32_e64 s[4:5], s25, v4
	s_and_b64 s[4:5], s[4:5], vcc
	v_pk_mov_b32 v[2:3], v[0:1], v[0:1] op_sel:[0,1]
	s_and_saveexec_b64 s[8:9], s[4:5]
	s_cbranch_execz .LBB60_19
; %bb.18:                               ;   in Loop: Header=BB60_7 Depth=2
	v_ashrrev_i32_e32 v5, 31, v4
	v_lshlrev_b64 v[0:1], 4, v[4:5]
	v_add_co_u32_e64 v0, s[4:5], v39, v0
	v_addc_co_u32_e64 v1, s[4:5], v40, v1, s[4:5]
	global_load_dwordx4 v[0:3], v[0:1], off
.LBB60_19:                              ;   in Loop: Header=BB60_7 Depth=2
	s_or_b64 exec, exec, s[8:9]
	s_waitcnt vmcnt(0)
	ds_write_b128 v36, v[0:3]
	s_waitcnt lgkmcnt(0)
	s_barrier
	s_and_saveexec_b64 s[4:5], s[16:17]
	s_cbranch_execz .LBB60_6
; %bb.20:                               ;   in Loop: Header=BB60_7 Depth=2
	ds_read_b128 v[0:3], v35
	ds_read_b128 v[4:7], v33
	ds_read_b128 v[8:11], v33 offset:16
	ds_read_b128 v[12:15], v33 offset:32
	;; [unrolled: 1-line block ×4, first 2 shown]
	s_waitcnt lgkmcnt(4)
	v_mul_f64 v[26:27], v[2:3], v[6:7]
	v_fma_f64 v[26:27], v[0:1], v[4:5], -v[26:27]
	v_mul_f64 v[0:1], v[0:1], v[6:7]
	v_fmac_f64_e32 v[0:1], v[2:3], v[4:5]
	v_add_f64 v[6:7], v[0:1], 0
	s_waitcnt lgkmcnt(0)
	v_mul_f64 v[0:1], v[44:45], v[10:11]
	v_add_f64 v[4:5], v[26:27], 0
	v_fma_f64 v[26:27], v[42:43], v[8:9], -v[0:1]
	ds_read_b128 v[0:3], v35 offset:1024
	v_mul_f64 v[10:11], v[42:43], v[10:11]
	v_fmac_f64_e32 v[10:11], v[44:45], v[8:9]
	v_add_f64 v[8:9], v[4:5], v[26:27]
	v_add_f64 v[10:11], v[6:7], v[10:11]
	ds_read_b128 v[4:7], v35 offset:1536
	s_waitcnt lgkmcnt(1)
	v_mul_f64 v[26:27], v[2:3], v[14:15]
	v_fma_f64 v[26:27], v[0:1], v[12:13], -v[26:27]
	v_mul_f64 v[0:1], v[0:1], v[14:15]
	v_fmac_f64_e32 v[0:1], v[2:3], v[12:13]
	v_add_f64 v[10:11], v[10:11], v[0:1]
	s_waitcnt lgkmcnt(0)
	v_mul_f64 v[0:1], v[6:7], v[24:25]
	v_mul_f64 v[14:15], v[4:5], v[24:25]
	v_add_f64 v[8:9], v[8:9], v[26:27]
	v_fma_f64 v[12:13], v[4:5], v[22:23], -v[0:1]
	v_fmac_f64_e32 v[14:15], v[6:7], v[22:23]
	ds_read_b128 v[0:3], v33 offset:64
	ds_read_b128 v[4:7], v35 offset:2048
	v_add_f64 v[22:23], v[8:9], v[12:13]
	v_add_f64 v[24:25], v[10:11], v[14:15]
	ds_read_b128 v[8:11], v35 offset:2560
	ds_read_b128 v[12:15], v33 offset:80
	s_waitcnt lgkmcnt(2)
	v_mul_f64 v[26:27], v[6:7], v[2:3]
	v_mul_f64 v[2:3], v[4:5], v[2:3]
	v_fma_f64 v[26:27], v[4:5], v[0:1], -v[26:27]
	v_fmac_f64_e32 v[2:3], v[6:7], v[0:1]
	s_waitcnt lgkmcnt(0)
	v_mul_f64 v[0:1], v[10:11], v[14:15]
	v_add_f64 v[22:23], v[22:23], v[26:27]
	v_fma_f64 v[26:27], v[8:9], v[12:13], -v[0:1]
	v_mul_f64 v[8:9], v[8:9], v[14:15]
	v_add_f64 v[24:25], v[24:25], v[2:3]
	v_fmac_f64_e32 v[8:9], v[10:11], v[12:13]
	ds_read_b128 v[0:3], v33 offset:96
	ds_read_b128 v[4:7], v35 offset:3072
	v_add_f64 v[24:25], v[24:25], v[8:9]
	ds_read_b128 v[8:11], v35 offset:3584
	ds_read_b128 v[12:15], v33 offset:112
	v_add_f64 v[22:23], v[22:23], v[26:27]
	s_waitcnt lgkmcnt(2)
	v_mul_f64 v[26:27], v[6:7], v[2:3]
	v_mul_f64 v[2:3], v[4:5], v[2:3]
	v_fma_f64 v[26:27], v[4:5], v[0:1], -v[26:27]
	v_fmac_f64_e32 v[2:3], v[6:7], v[0:1]
	s_waitcnt lgkmcnt(0)
	v_mul_f64 v[0:1], v[10:11], v[14:15]
	v_add_f64 v[22:23], v[22:23], v[26:27]
	v_fma_f64 v[26:27], v[8:9], v[12:13], -v[0:1]
	v_mul_f64 v[8:9], v[8:9], v[14:15]
	v_add_f64 v[24:25], v[24:25], v[2:3]
	v_fmac_f64_e32 v[8:9], v[10:11], v[12:13]
	ds_read_b128 v[0:3], v33 offset:128
	ds_read_b128 v[4:7], v35 offset:4096
	v_add_f64 v[24:25], v[24:25], v[8:9]
	ds_read_b128 v[8:11], v35 offset:4608
	ds_read_b128 v[12:15], v33 offset:144
	v_add_f64 v[22:23], v[22:23], v[26:27]
	;; [unrolled: 18-line block ×8, first 2 shown]
	s_waitcnt lgkmcnt(2)
	v_mul_f64 v[26:27], v[6:7], v[2:3]
	v_mul_f64 v[2:3], v[4:5], v[2:3]
	v_fma_f64 v[26:27], v[4:5], v[0:1], -v[26:27]
	v_fmac_f64_e32 v[2:3], v[6:7], v[0:1]
	s_waitcnt lgkmcnt(0)
	v_mul_f64 v[0:1], v[10:11], v[14:15]
	v_add_f64 v[22:23], v[22:23], v[26:27]
	v_fma_f64 v[26:27], v[8:9], v[12:13], -v[0:1]
	v_mul_f64 v[8:9], v[8:9], v[14:15]
	v_add_f64 v[24:25], v[24:25], v[2:3]
	v_fmac_f64_e32 v[8:9], v[10:11], v[12:13]
	ds_read_b128 v[0:3], v33 offset:352
	ds_read_b128 v[4:7], v35 offset:11264
	v_add_f64 v[24:25], v[24:25], v[8:9]
	ds_read_b128 v[8:11], v35 offset:11776
	ds_read_b128 v[12:15], v33 offset:368
	global_load_dwordx4 v[42:45], v[20:21], off
	v_add_f64 v[22:23], v[22:23], v[26:27]
	s_waitcnt lgkmcnt(2)
	v_mul_f64 v[26:27], v[6:7], v[2:3]
	v_mul_f64 v[2:3], v[4:5], v[2:3]
	v_fma_f64 v[26:27], v[4:5], v[0:1], -v[26:27]
	v_fmac_f64_e32 v[2:3], v[6:7], v[0:1]
	s_waitcnt lgkmcnt(0)
	v_mul_f64 v[0:1], v[10:11], v[14:15]
	v_add_f64 v[22:23], v[22:23], v[26:27]
	v_fma_f64 v[26:27], v[8:9], v[12:13], -v[0:1]
	v_mul_f64 v[8:9], v[8:9], v[14:15]
	v_add_f64 v[24:25], v[24:25], v[2:3]
	v_fmac_f64_e32 v[8:9], v[10:11], v[12:13]
	ds_read_b128 v[0:3], v33 offset:384
	ds_read_b128 v[4:7], v35 offset:12288
	v_add_f64 v[24:25], v[24:25], v[8:9]
	ds_read_b128 v[8:11], v35 offset:12800
	ds_read_b128 v[12:15], v33 offset:400
	v_add_f64 v[22:23], v[22:23], v[26:27]
	s_waitcnt lgkmcnt(2)
	v_mul_f64 v[26:27], v[6:7], v[2:3]
	v_mul_f64 v[2:3], v[4:5], v[2:3]
	v_fma_f64 v[26:27], v[4:5], v[0:1], -v[26:27]
	v_fmac_f64_e32 v[2:3], v[6:7], v[0:1]
	s_waitcnt lgkmcnt(0)
	v_mul_f64 v[0:1], v[10:11], v[14:15]
	v_add_f64 v[22:23], v[22:23], v[26:27]
	v_fma_f64 v[26:27], v[8:9], v[12:13], -v[0:1]
	v_mul_f64 v[8:9], v[8:9], v[14:15]
	v_add_f64 v[24:25], v[24:25], v[2:3]
	v_fmac_f64_e32 v[8:9], v[10:11], v[12:13]
	ds_read_b128 v[0:3], v33 offset:416
	ds_read_b128 v[4:7], v35 offset:13312
	v_add_f64 v[24:25], v[24:25], v[8:9]
	ds_read_b128 v[8:11], v35 offset:13824
	ds_read_b128 v[12:15], v33 offset:432
	;; [unrolled: 18-line block ×4, first 2 shown]
	v_add_f64 v[22:23], v[22:23], v[26:27]
	s_waitcnt lgkmcnt(2)
	v_mul_f64 v[26:27], v[6:7], v[2:3]
	v_mul_f64 v[2:3], v[4:5], v[2:3]
	v_fma_f64 v[26:27], v[4:5], v[0:1], -v[26:27]
	v_fmac_f64_e32 v[2:3], v[6:7], v[0:1]
	s_waitcnt lgkmcnt(0)
	v_mul_f64 v[4:5], v[10:11], v[14:15]
	v_mul_f64 v[6:7], v[8:9], v[14:15]
	v_add_f64 v[0:1], v[22:23], v[26:27]
	v_add_f64 v[2:3], v[24:25], v[2:3]
	v_fma_f64 v[4:5], v[8:9], v[12:13], -v[4:5]
	v_fmac_f64_e32 v[6:7], v[10:11], v[12:13]
	v_add_f64 v[0:1], v[0:1], v[4:5]
	v_add_f64 v[2:3], v[2:3], v[6:7]
	v_mul_f64 v[4:5], s[22:23], v[2:3]
	v_mul_f64 v[6:7], s[22:23], v[0:1]
	v_fma_f64 v[4:5], s[20:21], v[0:1], -v[4:5]
	v_fmac_f64_e32 v[6:7], s[20:21], v[2:3]
	s_waitcnt vmcnt(0)
	v_add_f64 v[0:1], v[42:43], v[4:5]
	v_add_f64 v[2:3], v[44:45], v[6:7]
	global_store_dwordx4 v[20:21], v[0:3], off
	s_branch .LBB60_6
.LBB60_21:
	s_endpgm
	.section	.rodata,"a",@progbits
	.p2align	6, 0x0
	.amdhsa_kernel _ZL24rocblas_symm_hemm_kernelILb1ELb0ELi32EPK19rocblas_complex_numIdEPKS3_PKPS1_EvbiiT2_T3_lllSA_lllT4_llli
		.amdhsa_group_segment_fixed_size 32768
		.amdhsa_private_segment_fixed_size 0
		.amdhsa_kernarg_size 384
		.amdhsa_user_sgpr_count 6
		.amdhsa_user_sgpr_private_segment_buffer 1
		.amdhsa_user_sgpr_dispatch_ptr 0
		.amdhsa_user_sgpr_queue_ptr 0
		.amdhsa_user_sgpr_kernarg_segment_ptr 1
		.amdhsa_user_sgpr_dispatch_id 0
		.amdhsa_user_sgpr_flat_scratch_init 0
		.amdhsa_user_sgpr_kernarg_preload_length 0
		.amdhsa_user_sgpr_kernarg_preload_offset 0
		.amdhsa_user_sgpr_private_segment_size 0
		.amdhsa_uses_dynamic_stack 0
		.amdhsa_system_sgpr_private_segment_wavefront_offset 0
		.amdhsa_system_sgpr_workgroup_id_x 1
		.amdhsa_system_sgpr_workgroup_id_y 1
		.amdhsa_system_sgpr_workgroup_id_z 1
		.amdhsa_system_sgpr_workgroup_info 0
		.amdhsa_system_vgpr_workitem_id 1
		.amdhsa_next_free_vgpr 46
		.amdhsa_next_free_sgpr 36
		.amdhsa_accum_offset 48
		.amdhsa_reserve_vcc 1
		.amdhsa_reserve_flat_scratch 0
		.amdhsa_float_round_mode_32 0
		.amdhsa_float_round_mode_16_64 0
		.amdhsa_float_denorm_mode_32 3
		.amdhsa_float_denorm_mode_16_64 3
		.amdhsa_dx10_clamp 1
		.amdhsa_ieee_mode 1
		.amdhsa_fp16_overflow 0
		.amdhsa_tg_split 0
		.amdhsa_exception_fp_ieee_invalid_op 0
		.amdhsa_exception_fp_denorm_src 0
		.amdhsa_exception_fp_ieee_div_zero 0
		.amdhsa_exception_fp_ieee_overflow 0
		.amdhsa_exception_fp_ieee_underflow 0
		.amdhsa_exception_fp_ieee_inexact 0
		.amdhsa_exception_int_div_zero 0
	.end_amdhsa_kernel
	.section	.text._ZL24rocblas_symm_hemm_kernelILb1ELb0ELi32EPK19rocblas_complex_numIdEPKS3_PKPS1_EvbiiT2_T3_lllSA_lllT4_llli,"axG",@progbits,_ZL24rocblas_symm_hemm_kernelILb1ELb0ELi32EPK19rocblas_complex_numIdEPKS3_PKPS1_EvbiiT2_T3_lllSA_lllT4_llli,comdat
.Lfunc_end60:
	.size	_ZL24rocblas_symm_hemm_kernelILb1ELb0ELi32EPK19rocblas_complex_numIdEPKS3_PKPS1_EvbiiT2_T3_lllSA_lllT4_llli, .Lfunc_end60-_ZL24rocblas_symm_hemm_kernelILb1ELb0ELi32EPK19rocblas_complex_numIdEPKS3_PKPS1_EvbiiT2_T3_lllSA_lllT4_llli
                                        ; -- End function
	.section	.AMDGPU.csdata,"",@progbits
; Kernel info:
; codeLenInByte = 3124
; NumSgprs: 40
; NumVgprs: 46
; NumAgprs: 0
; TotalNumVgprs: 46
; ScratchSize: 0
; MemoryBound: 1
; FloatMode: 240
; IeeeMode: 1
; LDSByteSize: 32768 bytes/workgroup (compile time only)
; SGPRBlocks: 4
; VGPRBlocks: 5
; NumSGPRsForWavesPerEU: 40
; NumVGPRsForWavesPerEU: 46
; AccumOffset: 48
; Occupancy: 8
; WaveLimiterHint : 1
; COMPUTE_PGM_RSRC2:SCRATCH_EN: 0
; COMPUTE_PGM_RSRC2:USER_SGPR: 6
; COMPUTE_PGM_RSRC2:TRAP_HANDLER: 0
; COMPUTE_PGM_RSRC2:TGID_X_EN: 1
; COMPUTE_PGM_RSRC2:TGID_Y_EN: 1
; COMPUTE_PGM_RSRC2:TGID_Z_EN: 1
; COMPUTE_PGM_RSRC2:TIDIG_COMP_CNT: 1
; COMPUTE_PGM_RSRC3_GFX90A:ACCUM_OFFSET: 11
; COMPUTE_PGM_RSRC3_GFX90A:TG_SPLIT: 0
	.section	.text._ZL24rocblas_symm_hemm_kernelILb1ELb1ELi32EPK19rocblas_complex_numIdEPKS3_PKPS1_EvbiiT2_T3_lllSA_lllT4_llli,"axG",@progbits,_ZL24rocblas_symm_hemm_kernelILb1ELb1ELi32EPK19rocblas_complex_numIdEPKS3_PKPS1_EvbiiT2_T3_lllSA_lllT4_llli,comdat
	.globl	_ZL24rocblas_symm_hemm_kernelILb1ELb1ELi32EPK19rocblas_complex_numIdEPKS3_PKPS1_EvbiiT2_T3_lllSA_lllT4_llli ; -- Begin function _ZL24rocblas_symm_hemm_kernelILb1ELb1ELi32EPK19rocblas_complex_numIdEPKS3_PKPS1_EvbiiT2_T3_lllSA_lllT4_llli
	.p2align	8
	.type	_ZL24rocblas_symm_hemm_kernelILb1ELb1ELi32EPK19rocblas_complex_numIdEPKS3_PKPS1_EvbiiT2_T3_lllSA_lllT4_llli,@function
_ZL24rocblas_symm_hemm_kernelILb1ELb1ELi32EPK19rocblas_complex_numIdEPKS3_PKPS1_EvbiiT2_T3_lllSA_lllT4_llli: ; @_ZL24rocblas_symm_hemm_kernelILb1ELb1ELi32EPK19rocblas_complex_numIdEPKS3_PKPS1_EvbiiT2_T3_lllSA_lllT4_llli
; %bb.0:
	s_load_dwordx8 s[12:19], s[4:5], 0x10
	s_waitcnt lgkmcnt(0)
	s_load_dwordx4 s[20:23], s[12:13], 0x0
	s_waitcnt lgkmcnt(0)
	v_cmp_eq_f64_e64 s[0:1], s[20:21], 0
	v_cmp_eq_f64_e64 s[2:3], s[22:23], 0
	s_and_b64 s[0:1], s[0:1], s[2:3]
	s_and_b64 vcc, exec, s[0:1]
	s_cbranch_vccnz .LBB61_21
; %bb.1:
	s_load_dwordx4 s[24:27], s[4:5], 0x0
	s_waitcnt lgkmcnt(0)
	s_add_i32 s0, s26, -1
	s_ashr_i32 s1, s0, 31
	s_lshr_b32 s1, s1, 27
	s_add_i32 s0, s0, s1
	s_ashr_i32 s27, s0, 5
	s_cmp_gt_i32 s7, s27
	s_cbranch_scc1 .LBB61_21
; %bb.2:
	s_mov_b32 s9, 0
	s_lshl_b64 s[8:9], s[8:9], 3
	s_add_u32 s14, s14, s8
	s_addc_u32 s15, s15, s9
	s_load_dwordx2 s[28:29], s[14:15], 0x0
	s_load_dwordx4 s[0:3], s[4:5], 0x38
	s_load_dwordx2 s[10:11], s[4:5], 0x48
	s_load_dwordx4 s[36:39], s[4:5], 0x58
	s_load_dwordx2 s[12:13], s[4:5], 0x68
	s_lshl_b64 s[14:15], s[16:17], 4
	s_waitcnt lgkmcnt(0)
	s_add_u32 s28, s28, s14
	s_addc_u32 s29, s29, s15
	s_add_u32 s0, s0, s8
	s_addc_u32 s1, s1, s9
	;; [unrolled: 2-line block ×3, first 2 shown]
	s_load_dwordx2 s[14:15], s[8:9], 0x0
	s_load_dwordx2 s[16:17], s[0:1], 0x0
	s_bitcmp1_b32 s24, 0
	s_cselect_b64 s[0:1], -1, 0
	s_lshl_b64 s[8:9], s[38:39], 4
	s_waitcnt lgkmcnt(0)
	s_add_u32 s8, s14, s8
	v_and_b32_e32 v28, 0x3ff, v0
	s_addc_u32 s9, s15, s9
	s_lshl_b64 s[2:3], s[2:3], 4
	v_lshl_add_u32 v2, s6, 5, v28
	s_add_u32 s14, s16, s2
	v_ashrrev_i32_e32 v3, 31, v2
	s_addc_u32 s15, s17, s3
	v_bfe_u32 v29, v0, 10, 10
	v_lshlrev_b64 v[0:1], 4, v[2:3]
	s_load_dword s6, s[4:5], 0x84
	v_cmp_gt_i32_e64 s[2:3], s25, v2
	v_mov_b32_e32 v2, s15
	v_add_co_u32_e32 v30, vcc, s14, v0
	s_cmp_gt_i32 s26, 0
	v_addc_co_u32_e32 v31, vcc, v2, v1, vcc
	v_lshlrev_b32_e32 v2, 4, v29
	v_lshlrev_b32_e32 v32, 9, v28
	v_add_co_u32_e32 v36, vcc, s8, v0
	v_lshl_add_u32 v0, s7, 5, v29
	s_cselect_b64 s[4:5], -1, 0
	v_add_u32_e32 v33, v32, v2
	v_or_b32_e32 v34, 0x4000, v2
	v_mov_b32_e32 v2, s9
	v_sub_u32_e32 v38, 0, v0
	v_cndmask_b32_e64 v0, 0, 1, s[4:5]
	v_add_u32_e32 v35, v34, v32
	v_addc_co_u32_e32 v37, vcc, v2, v1, vcc
	s_waitcnt lgkmcnt(0)
	s_lshl_b32 s30, s6, 5
	v_cmp_ne_u32_e64 s[4:5], 1, v0
	s_branch .LBB61_4
.LBB61_3:                               ;   in Loop: Header=BB61_4 Depth=1
	s_add_i32 s7, s7, s6
	s_cmp_gt_i32 s7, s27
	v_subrev_u32_e32 v38, s30, v38
	s_cbranch_scc1 .LBB61_21
.LBB61_4:                               ; =>This Loop Header: Depth=1
                                        ;     Child Loop BB61_7 Depth 2
	s_and_b64 vcc, exec, s[4:5]
	s_cbranch_vccnz .LBB61_3
; %bb.5:                                ;   in Loop: Header=BB61_4 Depth=1
	v_lshl_add_u32 v16, s7, 5, v29
	v_ashrrev_i32_e32 v17, 31, v16
	v_mul_lo_u32 v2, v17, s18
	v_mul_lo_u32 v3, v16, s19
	v_mad_u64_u32 v[0:1], s[8:9], v16, s18, 0
	v_add3_u32 v1, v1, v3, v2
	v_lshlrev_b64 v[0:1], 4, v[0:1]
	v_mov_b32_e32 v2, s29
	v_add_co_u32_e32 v39, vcc, s28, v0
	v_addc_co_u32_e32 v40, vcc, v2, v1, vcc
	v_lshlrev_b64 v[0:1], 4, v[16:17]
	v_add_co_u32_e32 v41, vcc, s28, v0
	v_addc_co_u32_e32 v42, vcc, v2, v1, vcc
	v_mul_lo_u32 v4, v17, s12
	v_mul_lo_u32 v5, v16, s13
	v_mad_u64_u32 v[2:3], s[8:9], v16, s12, 0
	v_add3_u32 v3, v3, v5, v4
	v_cmp_gt_i32_e32 vcc, s26, v16
	v_lshlrev_b64 v[2:3], 4, v[2:3]
	s_and_b64 s[14:15], s[2:3], vcc
	v_add_co_u32_e32 v18, vcc, v36, v2
	v_addc_co_u32_e32 v19, vcc, v37, v3, vcc
	v_add_co_u32_e32 v20, vcc, v39, v0
	v_addc_co_u32_e32 v21, vcc, v40, v1, vcc
	v_add_u32_e32 v17, v28, v38
	s_mov_b32 s31, 0
	s_branch .LBB61_7
.LBB61_6:                               ;   in Loop: Header=BB61_7 Depth=2
	s_or_b64 exec, exec, s[8:9]
	s_add_i32 s31, s31, 32
	s_cmp_ge_i32 s31, s26
	s_barrier
	s_cbranch_scc1 .LBB61_3
.LBB61_7:                               ;   Parent Loop BB61_4 Depth=1
                                        ; =>  This Inner Loop Header: Depth=2
	v_add_u32_e32 v6, s31, v29
	v_cmp_gt_i32_e32 vcc, s26, v6
	v_pk_mov_b32 v[0:1], 0, 0
	s_and_b64 s[16:17], s[2:3], vcc
	v_pk_mov_b32 v[2:3], v[0:1], v[0:1] op_sel:[0,1]
	v_pk_mov_b32 v[4:5], v[0:1], v[0:1] op_sel:[0,1]
	s_and_saveexec_b64 s[8:9], s[16:17]
	s_cbranch_execz .LBB61_9
; %bb.8:                                ;   in Loop: Header=BB61_7 Depth=2
	v_ashrrev_i32_e32 v2, 31, v6
	v_mul_lo_u32 v4, v6, s11
	v_mul_lo_u32 v5, v2, s10
	v_mad_u64_u32 v[2:3], s[16:17], v6, s10, 0
	v_add3_u32 v3, v3, v4, v5
	v_lshlrev_b64 v[2:3], 4, v[2:3]
	v_add_co_u32_e32 v2, vcc, v30, v2
	v_addc_co_u32_e32 v3, vcc, v31, v3, vcc
	global_load_dwordx4 v[2:5], v[2:3], off
.LBB61_9:                               ;   in Loop: Header=BB61_7 Depth=2
	s_or_b64 exec, exec, s[8:9]
	s_waitcnt vmcnt(0)
	ds_write_b128 v33, v[2:5]
	v_add_u32_e32 v4, s31, v28
	v_cndmask_b32_e64 v2, v16, v4, s[0:1]
	v_cndmask_b32_e64 v3, v4, v16, s[0:1]
	v_cmp_gt_i32_e64 s[8:9], v2, v3
	v_cmp_le_i32_e32 vcc, v2, v3
	v_cndmask_b32_e64 v2, v4, v16, s[8:9]
	v_cndmask_b32_e64 v3, v16, v4, s[8:9]
	v_max_i32_e32 v2, v2, v3
	v_cmp_gt_i32_e64 s[8:9], s26, v2
	v_pk_mov_b32 v[2:3], v[0:1], v[0:1] op_sel:[0,1]
	s_and_saveexec_b64 s[16:17], s[8:9]
	s_cbranch_execz .LBB61_19
; %bb.10:                               ;   in Loop: Header=BB61_7 Depth=2
                                        ; implicit-def: $vgpr2_vgpr3
	s_and_saveexec_b64 s[8:9], vcc
	s_xor_b64 s[8:9], exec, s[8:9]
	s_cbranch_execz .LBB61_16
; %bb.11:                               ;   in Loop: Header=BB61_7 Depth=2
	v_add_u32_e32 v0, s31, v17
	v_cmp_ne_u32_e32 vcc, 0, v0
                                        ; implicit-def: $vgpr2_vgpr3
	s_and_saveexec_b64 s[24:25], vcc
	s_xor_b64 s[24:25], exec, s[24:25]
	s_cbranch_execz .LBB61_13
; %bb.12:                               ;   in Loop: Header=BB61_7 Depth=2
	v_ashrrev_i32_e32 v5, 31, v4
	v_lshlrev_b64 v[0:1], 4, v[4:5]
	v_add_co_u32_e32 v0, vcc, v39, v0
	v_addc_co_u32_e32 v1, vcc, v40, v1, vcc
	global_load_dwordx4 v[0:3], v[0:1], off
.LBB61_13:                              ;   in Loop: Header=BB61_7 Depth=2
	s_andn2_saveexec_b64 s[24:25], s[24:25]
	s_cbranch_execz .LBB61_15
; %bb.14:                               ;   in Loop: Header=BB61_7 Depth=2
	global_load_dwordx2 v[0:1], v[20:21], off
	s_waitcnt vmcnt(1)
	v_pk_mov_b32 v[2:3], 0, 0
.LBB61_15:                              ;   in Loop: Header=BB61_7 Depth=2
	s_or_b64 exec, exec, s[24:25]
                                        ; implicit-def: $vgpr4
.LBB61_16:                              ;   in Loop: Header=BB61_7 Depth=2
	s_andn2_saveexec_b64 s[8:9], s[8:9]
	s_cbranch_execz .LBB61_18
; %bb.17:                               ;   in Loop: Header=BB61_7 Depth=2
	s_waitcnt vmcnt(0)
	v_ashrrev_i32_e32 v0, 31, v4
	v_mul_lo_u32 v2, v4, s19
	v_mul_lo_u32 v3, v0, s18
	v_mad_u64_u32 v[0:1], s[24:25], v4, s18, 0
	v_add3_u32 v1, v1, v2, v3
	v_lshlrev_b64 v[0:1], 4, v[0:1]
	v_add_co_u32_e32 v0, vcc, v41, v0
	v_addc_co_u32_e32 v1, vcc, v42, v1, vcc
	global_load_dwordx4 v[0:3], v[0:1], off
	s_waitcnt vmcnt(0)
	v_xor_b32_e32 v3, 0x80000000, v3
.LBB61_18:                              ;   in Loop: Header=BB61_7 Depth=2
	s_or_b64 exec, exec, s[8:9]
.LBB61_19:                              ;   in Loop: Header=BB61_7 Depth=2
	s_or_b64 exec, exec, s[16:17]
	s_waitcnt vmcnt(0)
	ds_write_b128 v35, v[0:3]
	s_waitcnt lgkmcnt(0)
	s_barrier
	s_and_saveexec_b64 s[8:9], s[14:15]
	s_cbranch_execz .LBB61_6
; %bb.20:                               ;   in Loop: Header=BB61_7 Depth=2
	ds_read_b128 v[0:3], v34
	ds_read_b128 v[4:7], v32
	ds_read_b128 v[8:11], v32 offset:16
	ds_read_b128 v[12:15], v32 offset:32
	;; [unrolled: 1-line block ×4, first 2 shown]
	s_waitcnt lgkmcnt(4)
	v_mul_f64 v[26:27], v[2:3], v[6:7]
	v_fma_f64 v[26:27], v[0:1], v[4:5], -v[26:27]
	v_mul_f64 v[0:1], v[0:1], v[6:7]
	v_fmac_f64_e32 v[0:1], v[2:3], v[4:5]
	v_add_f64 v[6:7], v[0:1], 0
	s_waitcnt lgkmcnt(0)
	v_mul_f64 v[0:1], v[46:47], v[10:11]
	v_add_f64 v[4:5], v[26:27], 0
	v_fma_f64 v[26:27], v[44:45], v[8:9], -v[0:1]
	ds_read_b128 v[0:3], v34 offset:1024
	v_mul_f64 v[10:11], v[44:45], v[10:11]
	v_fmac_f64_e32 v[10:11], v[46:47], v[8:9]
	v_add_f64 v[8:9], v[4:5], v[26:27]
	v_add_f64 v[10:11], v[6:7], v[10:11]
	ds_read_b128 v[4:7], v34 offset:1536
	s_waitcnt lgkmcnt(1)
	v_mul_f64 v[26:27], v[2:3], v[14:15]
	v_fma_f64 v[26:27], v[0:1], v[12:13], -v[26:27]
	v_mul_f64 v[0:1], v[0:1], v[14:15]
	v_fmac_f64_e32 v[0:1], v[2:3], v[12:13]
	v_add_f64 v[10:11], v[10:11], v[0:1]
	s_waitcnt lgkmcnt(0)
	v_mul_f64 v[0:1], v[6:7], v[24:25]
	v_mul_f64 v[14:15], v[4:5], v[24:25]
	v_add_f64 v[8:9], v[8:9], v[26:27]
	v_fma_f64 v[12:13], v[4:5], v[22:23], -v[0:1]
	v_fmac_f64_e32 v[14:15], v[6:7], v[22:23]
	ds_read_b128 v[0:3], v32 offset:64
	ds_read_b128 v[4:7], v34 offset:2048
	v_add_f64 v[22:23], v[8:9], v[12:13]
	v_add_f64 v[24:25], v[10:11], v[14:15]
	ds_read_b128 v[8:11], v34 offset:2560
	ds_read_b128 v[12:15], v32 offset:80
	s_waitcnt lgkmcnt(2)
	v_mul_f64 v[26:27], v[6:7], v[2:3]
	v_mul_f64 v[2:3], v[4:5], v[2:3]
	v_fma_f64 v[26:27], v[4:5], v[0:1], -v[26:27]
	v_fmac_f64_e32 v[2:3], v[6:7], v[0:1]
	s_waitcnt lgkmcnt(0)
	v_mul_f64 v[0:1], v[10:11], v[14:15]
	v_add_f64 v[22:23], v[22:23], v[26:27]
	v_fma_f64 v[26:27], v[8:9], v[12:13], -v[0:1]
	v_mul_f64 v[8:9], v[8:9], v[14:15]
	v_add_f64 v[24:25], v[24:25], v[2:3]
	v_fmac_f64_e32 v[8:9], v[10:11], v[12:13]
	ds_read_b128 v[0:3], v32 offset:96
	ds_read_b128 v[4:7], v34 offset:3072
	v_add_f64 v[24:25], v[24:25], v[8:9]
	ds_read_b128 v[8:11], v34 offset:3584
	ds_read_b128 v[12:15], v32 offset:112
	v_add_f64 v[22:23], v[22:23], v[26:27]
	s_waitcnt lgkmcnt(2)
	v_mul_f64 v[26:27], v[6:7], v[2:3]
	v_mul_f64 v[2:3], v[4:5], v[2:3]
	v_fma_f64 v[26:27], v[4:5], v[0:1], -v[26:27]
	v_fmac_f64_e32 v[2:3], v[6:7], v[0:1]
	s_waitcnt lgkmcnt(0)
	v_mul_f64 v[0:1], v[10:11], v[14:15]
	v_add_f64 v[22:23], v[22:23], v[26:27]
	v_fma_f64 v[26:27], v[8:9], v[12:13], -v[0:1]
	v_mul_f64 v[8:9], v[8:9], v[14:15]
	v_add_f64 v[24:25], v[24:25], v[2:3]
	v_fmac_f64_e32 v[8:9], v[10:11], v[12:13]
	ds_read_b128 v[0:3], v32 offset:128
	ds_read_b128 v[4:7], v34 offset:4096
	v_add_f64 v[24:25], v[24:25], v[8:9]
	ds_read_b128 v[8:11], v34 offset:4608
	ds_read_b128 v[12:15], v32 offset:144
	v_add_f64 v[22:23], v[22:23], v[26:27]
	;; [unrolled: 18-line block ×8, first 2 shown]
	s_waitcnt lgkmcnt(2)
	v_mul_f64 v[26:27], v[6:7], v[2:3]
	v_mul_f64 v[2:3], v[4:5], v[2:3]
	v_fma_f64 v[26:27], v[4:5], v[0:1], -v[26:27]
	v_fmac_f64_e32 v[2:3], v[6:7], v[0:1]
	s_waitcnt lgkmcnt(0)
	v_mul_f64 v[0:1], v[10:11], v[14:15]
	v_add_f64 v[22:23], v[22:23], v[26:27]
	v_fma_f64 v[26:27], v[8:9], v[12:13], -v[0:1]
	v_mul_f64 v[8:9], v[8:9], v[14:15]
	v_add_f64 v[24:25], v[24:25], v[2:3]
	v_fmac_f64_e32 v[8:9], v[10:11], v[12:13]
	ds_read_b128 v[0:3], v32 offset:352
	ds_read_b128 v[4:7], v34 offset:11264
	v_add_f64 v[24:25], v[24:25], v[8:9]
	ds_read_b128 v[8:11], v34 offset:11776
	ds_read_b128 v[12:15], v32 offset:368
	global_load_dwordx4 v[44:47], v[18:19], off
	v_add_f64 v[22:23], v[22:23], v[26:27]
	s_waitcnt lgkmcnt(2)
	v_mul_f64 v[26:27], v[6:7], v[2:3]
	v_mul_f64 v[2:3], v[4:5], v[2:3]
	v_fma_f64 v[26:27], v[4:5], v[0:1], -v[26:27]
	v_fmac_f64_e32 v[2:3], v[6:7], v[0:1]
	s_waitcnt lgkmcnt(0)
	v_mul_f64 v[0:1], v[10:11], v[14:15]
	v_add_f64 v[22:23], v[22:23], v[26:27]
	v_fma_f64 v[26:27], v[8:9], v[12:13], -v[0:1]
	v_mul_f64 v[8:9], v[8:9], v[14:15]
	v_add_f64 v[24:25], v[24:25], v[2:3]
	v_fmac_f64_e32 v[8:9], v[10:11], v[12:13]
	ds_read_b128 v[0:3], v32 offset:384
	ds_read_b128 v[4:7], v34 offset:12288
	v_add_f64 v[24:25], v[24:25], v[8:9]
	ds_read_b128 v[8:11], v34 offset:12800
	ds_read_b128 v[12:15], v32 offset:400
	v_add_f64 v[22:23], v[22:23], v[26:27]
	s_waitcnt lgkmcnt(2)
	v_mul_f64 v[26:27], v[6:7], v[2:3]
	v_mul_f64 v[2:3], v[4:5], v[2:3]
	v_fma_f64 v[26:27], v[4:5], v[0:1], -v[26:27]
	v_fmac_f64_e32 v[2:3], v[6:7], v[0:1]
	s_waitcnt lgkmcnt(0)
	v_mul_f64 v[0:1], v[10:11], v[14:15]
	v_add_f64 v[22:23], v[22:23], v[26:27]
	v_fma_f64 v[26:27], v[8:9], v[12:13], -v[0:1]
	v_mul_f64 v[8:9], v[8:9], v[14:15]
	v_add_f64 v[24:25], v[24:25], v[2:3]
	v_fmac_f64_e32 v[8:9], v[10:11], v[12:13]
	ds_read_b128 v[0:3], v32 offset:416
	ds_read_b128 v[4:7], v34 offset:13312
	v_add_f64 v[24:25], v[24:25], v[8:9]
	ds_read_b128 v[8:11], v34 offset:13824
	ds_read_b128 v[12:15], v32 offset:432
	;; [unrolled: 18-line block ×4, first 2 shown]
	v_add_f64 v[22:23], v[22:23], v[26:27]
	s_waitcnt lgkmcnt(2)
	v_mul_f64 v[26:27], v[6:7], v[2:3]
	v_mul_f64 v[2:3], v[4:5], v[2:3]
	v_fma_f64 v[26:27], v[4:5], v[0:1], -v[26:27]
	v_fmac_f64_e32 v[2:3], v[6:7], v[0:1]
	s_waitcnt lgkmcnt(0)
	v_mul_f64 v[4:5], v[10:11], v[14:15]
	v_mul_f64 v[6:7], v[8:9], v[14:15]
	v_add_f64 v[0:1], v[22:23], v[26:27]
	v_add_f64 v[2:3], v[24:25], v[2:3]
	v_fma_f64 v[4:5], v[8:9], v[12:13], -v[4:5]
	v_fmac_f64_e32 v[6:7], v[10:11], v[12:13]
	v_add_f64 v[0:1], v[0:1], v[4:5]
	v_add_f64 v[2:3], v[2:3], v[6:7]
	v_mul_f64 v[4:5], s[22:23], v[2:3]
	v_mul_f64 v[6:7], s[22:23], v[0:1]
	v_fma_f64 v[4:5], s[20:21], v[0:1], -v[4:5]
	v_fmac_f64_e32 v[6:7], s[20:21], v[2:3]
	s_waitcnt vmcnt(0)
	v_add_f64 v[0:1], v[44:45], v[4:5]
	v_add_f64 v[2:3], v[46:47], v[6:7]
	global_store_dwordx4 v[18:19], v[0:3], off
	s_branch .LBB61_6
.LBB61_21:
	s_endpgm
	.section	.rodata,"a",@progbits
	.p2align	6, 0x0
	.amdhsa_kernel _ZL24rocblas_symm_hemm_kernelILb1ELb1ELi32EPK19rocblas_complex_numIdEPKS3_PKPS1_EvbiiT2_T3_lllSA_lllT4_llli
		.amdhsa_group_segment_fixed_size 32768
		.amdhsa_private_segment_fixed_size 0
		.amdhsa_kernarg_size 384
		.amdhsa_user_sgpr_count 6
		.amdhsa_user_sgpr_private_segment_buffer 1
		.amdhsa_user_sgpr_dispatch_ptr 0
		.amdhsa_user_sgpr_queue_ptr 0
		.amdhsa_user_sgpr_kernarg_segment_ptr 1
		.amdhsa_user_sgpr_dispatch_id 0
		.amdhsa_user_sgpr_flat_scratch_init 0
		.amdhsa_user_sgpr_kernarg_preload_length 0
		.amdhsa_user_sgpr_kernarg_preload_offset 0
		.amdhsa_user_sgpr_private_segment_size 0
		.amdhsa_uses_dynamic_stack 0
		.amdhsa_system_sgpr_private_segment_wavefront_offset 0
		.amdhsa_system_sgpr_workgroup_id_x 1
		.amdhsa_system_sgpr_workgroup_id_y 1
		.amdhsa_system_sgpr_workgroup_id_z 1
		.amdhsa_system_sgpr_workgroup_info 0
		.amdhsa_system_vgpr_workitem_id 1
		.amdhsa_next_free_vgpr 48
		.amdhsa_next_free_sgpr 40
		.amdhsa_accum_offset 48
		.amdhsa_reserve_vcc 1
		.amdhsa_reserve_flat_scratch 0
		.amdhsa_float_round_mode_32 0
		.amdhsa_float_round_mode_16_64 0
		.amdhsa_float_denorm_mode_32 3
		.amdhsa_float_denorm_mode_16_64 3
		.amdhsa_dx10_clamp 1
		.amdhsa_ieee_mode 1
		.amdhsa_fp16_overflow 0
		.amdhsa_tg_split 0
		.amdhsa_exception_fp_ieee_invalid_op 0
		.amdhsa_exception_fp_denorm_src 0
		.amdhsa_exception_fp_ieee_div_zero 0
		.amdhsa_exception_fp_ieee_overflow 0
		.amdhsa_exception_fp_ieee_underflow 0
		.amdhsa_exception_fp_ieee_inexact 0
		.amdhsa_exception_int_div_zero 0
	.end_amdhsa_kernel
	.section	.text._ZL24rocblas_symm_hemm_kernelILb1ELb1ELi32EPK19rocblas_complex_numIdEPKS3_PKPS1_EvbiiT2_T3_lllSA_lllT4_llli,"axG",@progbits,_ZL24rocblas_symm_hemm_kernelILb1ELb1ELi32EPK19rocblas_complex_numIdEPKS3_PKPS1_EvbiiT2_T3_lllSA_lllT4_llli,comdat
.Lfunc_end61:
	.size	_ZL24rocblas_symm_hemm_kernelILb1ELb1ELi32EPK19rocblas_complex_numIdEPKS3_PKPS1_EvbiiT2_T3_lllSA_lllT4_llli, .Lfunc_end61-_ZL24rocblas_symm_hemm_kernelILb1ELb1ELi32EPK19rocblas_complex_numIdEPKS3_PKPS1_EvbiiT2_T3_lllSA_lllT4_llli
                                        ; -- End function
	.section	.AMDGPU.csdata,"",@progbits
; Kernel info:
; codeLenInByte = 3108
; NumSgprs: 44
; NumVgprs: 48
; NumAgprs: 0
; TotalNumVgprs: 48
; ScratchSize: 0
; MemoryBound: 1
; FloatMode: 240
; IeeeMode: 1
; LDSByteSize: 32768 bytes/workgroup (compile time only)
; SGPRBlocks: 5
; VGPRBlocks: 5
; NumSGPRsForWavesPerEU: 44
; NumVGPRsForWavesPerEU: 48
; AccumOffset: 48
; Occupancy: 8
; WaveLimiterHint : 1
; COMPUTE_PGM_RSRC2:SCRATCH_EN: 0
; COMPUTE_PGM_RSRC2:USER_SGPR: 6
; COMPUTE_PGM_RSRC2:TRAP_HANDLER: 0
; COMPUTE_PGM_RSRC2:TGID_X_EN: 1
; COMPUTE_PGM_RSRC2:TGID_Y_EN: 1
; COMPUTE_PGM_RSRC2:TGID_Z_EN: 1
; COMPUTE_PGM_RSRC2:TIDIG_COMP_CNT: 1
; COMPUTE_PGM_RSRC3_GFX90A:ACCUM_OFFSET: 11
; COMPUTE_PGM_RSRC3_GFX90A:TG_SPLIT: 0
	.section	.text._ZL24rocblas_symm_hemm_kernelILb1ELb0ELi32E19rocblas_complex_numIdEPKPKS1_PKPS1_EvbiiT2_T3_lllSA_lllT4_llli,"axG",@progbits,_ZL24rocblas_symm_hemm_kernelILb1ELb0ELi32E19rocblas_complex_numIdEPKPKS1_PKPS1_EvbiiT2_T3_lllSA_lllT4_llli,comdat
	.globl	_ZL24rocblas_symm_hemm_kernelILb1ELb0ELi32E19rocblas_complex_numIdEPKPKS1_PKPS1_EvbiiT2_T3_lllSA_lllT4_llli ; -- Begin function _ZL24rocblas_symm_hemm_kernelILb1ELb0ELi32E19rocblas_complex_numIdEPKPKS1_PKPS1_EvbiiT2_T3_lllSA_lllT4_llli
	.p2align	8
	.type	_ZL24rocblas_symm_hemm_kernelILb1ELb0ELi32E19rocblas_complex_numIdEPKPKS1_PKPS1_EvbiiT2_T3_lllSA_lllT4_llli,@function
_ZL24rocblas_symm_hemm_kernelILb1ELb0ELi32E19rocblas_complex_numIdEPKPKS1_PKPS1_EvbiiT2_T3_lllSA_lllT4_llli: ; @_ZL24rocblas_symm_hemm_kernelILb1ELb0ELi32E19rocblas_complex_numIdEPKPKS1_PKPS1_EvbiiT2_T3_lllSA_lllT4_llli
; %bb.0:
	s_load_dwordx8 s[12:19], s[4:5], 0x10
	s_waitcnt lgkmcnt(0)
	v_cmp_eq_f64_e64 s[0:1], s[12:13], 0
	v_cmp_eq_f64_e64 s[2:3], s[14:15], 0
	s_and_b64 s[0:1], s[0:1], s[2:3]
	s_and_b64 vcc, exec, s[0:1]
	s_cbranch_vccnz .LBB62_21
; %bb.1:
	s_load_dwordx4 s[20:23], s[4:5], 0x0
	s_waitcnt lgkmcnt(0)
	s_add_i32 s0, s22, -1
	s_ashr_i32 s1, s0, 31
	s_lshr_b32 s1, s1, 27
	s_add_i32 s0, s0, s1
	s_ashr_i32 s23, s0, 5
	s_cmp_gt_i32 s7, s23
	s_cbranch_scc1 .LBB62_21
; %bb.2:
	s_load_dwordx4 s[0:3], s[4:5], 0x40
	s_mov_b32 s9, 0
	s_lshl_b64 s[8:9], s[8:9], 3
	s_add_u32 s28, s16, s8
	s_addc_u32 s29, s17, s9
	s_waitcnt lgkmcnt(0)
	s_add_u32 s0, s0, s8
	s_addc_u32 s1, s1, s9
	s_load_dwordx2 s[30:31], s[0:1], 0x0
	s_load_dwordx2 s[10:11], s[4:5], 0x30
	s_load_dwordx4 s[24:27], s[4:5], 0x60
	s_load_dwordx2 s[16:17], s[4:5], 0x50
	s_lshl_b64 s[0:1], s[2:3], 4
	s_waitcnt lgkmcnt(0)
	s_add_u32 s33, s30, s0
	s_addc_u32 s34, s31, s1
	s_add_u32 s0, s24, s8
	s_addc_u32 s1, s25, s9
	s_load_dwordx2 s[2:3], s[0:1], 0x0
	s_load_dwordx2 s[8:9], s[28:29], 0x0
	s_bitcmp1_b32 s20, 0
	s_cselect_b64 s[0:1], -1, 0
	s_lshl_b64 s[24:25], s[26:27], 4
	s_waitcnt lgkmcnt(0)
	s_add_u32 s20, s2, s24
	v_and_b32_e32 v28, 0x3ff, v0
	s_addc_u32 s24, s3, s25
	s_lshl_b64 s[2:3], s[18:19], 4
	v_lshl_add_u32 v16, s6, 5, v28
	s_add_u32 s8, s8, s2
	v_ashrrev_i32_e32 v17, 31, v16
	s_addc_u32 s9, s9, s3
	v_bfe_u32 v29, v0, 10, 10
	v_lshlrev_b64 v[0:1], 4, v[16:17]
	v_mov_b32_e32 v2, s9
	v_add_co_u32_e32 v30, vcc, s8, v0
	v_addc_co_u32_e32 v31, vcc, v2, v1, vcc
	v_mul_lo_u32 v4, v17, s10
	v_mul_lo_u32 v5, v16, s11
	v_mad_u64_u32 v[2:3], s[2:3], v16, s10, 0
	v_add3_u32 v3, v3, v5, v4
	v_lshlrev_b64 v[2:3], 4, v[2:3]
	v_mov_b32_e32 v4, s9
	v_add_co_u32_e32 v17, vcc, s8, v2
	v_addc_co_u32_e32 v32, vcc, v4, v3, vcc
	v_lshlrev_b32_e32 v4, 4, v29
	v_lshlrev_b32_e32 v33, 9, v28
	s_load_dwordx2 s[18:19], s[4:5], 0x70
	s_load_dword s6, s[4:5], 0x8c
	v_add_u32_e32 v34, v33, v4
	v_or_b32_e32 v35, 0x4000, v4
	v_mov_b32_e32 v4, s24
	v_add_co_u32_e32 v37, vcc, s20, v0
	v_addc_co_u32_e32 v38, vcc, v4, v1, vcc
	s_cmp_gt_i32 s21, 0
	v_add_co_u32_e32 v18, vcc, v30, v2
	v_add_u32_e32 v36, v35, v33
	v_cmp_gt_i32_e64 s[2:3], s21, v16
	v_addc_co_u32_e32 v19, vcc, v31, v3, vcc
	s_cselect_b64 s[24:25], -1, 0
	s_branch .LBB62_4
.LBB62_3:                               ;   in Loop: Header=BB62_4 Depth=1
	s_waitcnt lgkmcnt(0)
	s_add_i32 s7, s7, s6
	s_cmp_gt_i32 s7, s23
	s_cbranch_scc1 .LBB62_21
.LBB62_4:                               ; =>This Loop Header: Depth=1
                                        ;     Child Loop BB62_7 Depth 2
	s_andn2_b64 vcc, exec, s[24:25]
	s_cbranch_vccnz .LBB62_3
; %bb.5:                                ;   in Loop: Header=BB62_4 Depth=1
	v_lshl_add_u32 v2, s7, 5, v29
	v_ashrrev_i32_e32 v3, 31, v2
	v_mul_lo_u32 v4, v3, s16
	v_mul_lo_u32 v5, v2, s17
	v_mad_u64_u32 v[0:1], s[4:5], v2, s16, 0
	v_add3_u32 v1, v1, v5, v4
	v_lshlrev_b64 v[0:1], 4, v[0:1]
	v_mov_b32_e32 v4, s34
	v_add_co_u32_e64 v39, s[4:5], s33, v0
	v_addc_co_u32_e64 v40, s[4:5], v4, v1, s[4:5]
	s_waitcnt lgkmcnt(0)
	v_mul_lo_u32 v3, v3, s18
	v_mul_lo_u32 v4, v2, s19
	v_mad_u64_u32 v[0:1], s[4:5], v2, s18, 0
	v_add3_u32 v1, v1, v4, v3
	v_lshlrev_b64 v[0:1], 4, v[0:1]
	v_cmp_gt_i32_e32 vcc, s22, v2
	v_add_co_u32_e64 v20, s[4:5], v37, v0
	s_and_b64 s[26:27], s[2:3], vcc
	v_addc_co_u32_e64 v21, s[4:5], v38, v1, s[4:5]
	s_mov_b32 s20, 0
	s_branch .LBB62_7
.LBB62_6:                               ;   in Loop: Header=BB62_7 Depth=2
	s_or_b64 exec, exec, s[4:5]
	s_add_i32 s20, s20, 32
	s_cmp_ge_i32 s20, s21
	s_barrier
	s_cbranch_scc1 .LBB62_3
.LBB62_7:                               ;   Parent Loop BB62_4 Depth=1
                                        ; =>  This Inner Loop Header: Depth=2
	v_add_u32_e32 v6, s20, v29
	v_cndmask_b32_e64 v0, v6, v16, s[0:1]
	v_cndmask_b32_e64 v1, v16, v6, s[0:1]
	v_cmp_gt_i32_e64 s[8:9], v0, v1
	v_cmp_le_i32_e64 s[4:5], v0, v1
	v_cndmask_b32_e64 v0, v16, v6, s[8:9]
	v_cndmask_b32_e64 v1, v6, v16, s[8:9]
	v_max_i32_e32 v0, v0, v1
	v_cmp_gt_i32_e64 s[8:9], s21, v0
	v_pk_mov_b32 v[0:1], 0, 0
	v_pk_mov_b32 v[2:3], v[0:1], v[0:1] op_sel:[0,1]
	v_pk_mov_b32 v[4:5], v[0:1], v[0:1] op_sel:[0,1]
	s_and_saveexec_b64 s[28:29], s[8:9]
	s_cbranch_execz .LBB62_17
; %bb.8:                                ;   in Loop: Header=BB62_7 Depth=2
                                        ; implicit-def: $vgpr4_vgpr5
	s_and_saveexec_b64 s[8:9], s[4:5]
	s_xor_b64 s[8:9], exec, s[8:9]
	s_cbranch_execz .LBB62_14
; %bb.9:                                ;   in Loop: Header=BB62_7 Depth=2
	v_cmp_ne_u32_e64 s[4:5], v6, v16
                                        ; implicit-def: $vgpr4_vgpr5
	s_and_saveexec_b64 s[30:31], s[4:5]
	s_xor_b64 s[30:31], exec, s[30:31]
	s_cbranch_execz .LBB62_11
; %bb.10:                               ;   in Loop: Header=BB62_7 Depth=2
	v_ashrrev_i32_e32 v2, 31, v6
	v_mul_lo_u32 v4, v6, s11
	v_mul_lo_u32 v5, v2, s10
	v_mad_u64_u32 v[2:3], s[4:5], v6, s10, 0
	v_add3_u32 v3, v3, v4, v5
	v_lshlrev_b64 v[2:3], 4, v[2:3]
	v_add_co_u32_e64 v2, s[4:5], v30, v2
	v_addc_co_u32_e64 v3, s[4:5], v31, v3, s[4:5]
	global_load_dwordx4 v[2:5], v[2:3], off
.LBB62_11:                              ;   in Loop: Header=BB62_7 Depth=2
	s_andn2_saveexec_b64 s[4:5], s[30:31]
	s_cbranch_execz .LBB62_13
; %bb.12:                               ;   in Loop: Header=BB62_7 Depth=2
	global_load_dwordx2 v[2:3], v[18:19], off
	s_waitcnt vmcnt(1)
	v_pk_mov_b32 v[4:5], 0, 0
.LBB62_13:                              ;   in Loop: Header=BB62_7 Depth=2
	s_or_b64 exec, exec, s[4:5]
                                        ; implicit-def: $vgpr6
.LBB62_14:                              ;   in Loop: Header=BB62_7 Depth=2
	s_andn2_saveexec_b64 s[8:9], s[8:9]
	s_cbranch_execz .LBB62_16
; %bb.15:                               ;   in Loop: Header=BB62_7 Depth=2
	v_ashrrev_i32_e32 v7, 31, v6
	s_waitcnt vmcnt(0)
	v_lshlrev_b64 v[2:3], 4, v[6:7]
	v_add_co_u32_e64 v2, s[4:5], v17, v2
	v_addc_co_u32_e64 v3, s[4:5], v32, v3, s[4:5]
	global_load_dwordx4 v[2:5], v[2:3], off
	s_waitcnt vmcnt(0)
	v_xor_b32_e32 v5, 0x80000000, v5
.LBB62_16:                              ;   in Loop: Header=BB62_7 Depth=2
	s_or_b64 exec, exec, s[8:9]
.LBB62_17:                              ;   in Loop: Header=BB62_7 Depth=2
	s_or_b64 exec, exec, s[28:29]
	s_waitcnt vmcnt(0)
	ds_write_b128 v34, v[2:5]
	v_add_u32_e32 v4, s20, v28
	v_cmp_gt_i32_e64 s[4:5], s21, v4
	s_and_b64 s[4:5], s[4:5], vcc
	v_pk_mov_b32 v[2:3], v[0:1], v[0:1] op_sel:[0,1]
	s_and_saveexec_b64 s[8:9], s[4:5]
	s_cbranch_execz .LBB62_19
; %bb.18:                               ;   in Loop: Header=BB62_7 Depth=2
	v_ashrrev_i32_e32 v5, 31, v4
	v_lshlrev_b64 v[0:1], 4, v[4:5]
	v_add_co_u32_e64 v0, s[4:5], v39, v0
	v_addc_co_u32_e64 v1, s[4:5], v40, v1, s[4:5]
	global_load_dwordx4 v[0:3], v[0:1], off
.LBB62_19:                              ;   in Loop: Header=BB62_7 Depth=2
	s_or_b64 exec, exec, s[8:9]
	s_waitcnt vmcnt(0)
	ds_write_b128 v36, v[0:3]
	s_waitcnt lgkmcnt(0)
	s_barrier
	s_and_saveexec_b64 s[4:5], s[26:27]
	s_cbranch_execz .LBB62_6
; %bb.20:                               ;   in Loop: Header=BB62_7 Depth=2
	ds_read_b128 v[0:3], v35
	ds_read_b128 v[4:7], v33
	ds_read_b128 v[8:11], v33 offset:16
	ds_read_b128 v[12:15], v33 offset:32
	ds_read_b128 v[22:25], v33 offset:48
	ds_read_b128 v[42:45], v35 offset:512
	s_waitcnt lgkmcnt(4)
	v_mul_f64 v[26:27], v[2:3], v[6:7]
	v_fma_f64 v[26:27], v[0:1], v[4:5], -v[26:27]
	v_mul_f64 v[0:1], v[0:1], v[6:7]
	v_fmac_f64_e32 v[0:1], v[2:3], v[4:5]
	v_add_f64 v[6:7], v[0:1], 0
	s_waitcnt lgkmcnt(0)
	v_mul_f64 v[0:1], v[44:45], v[10:11]
	v_add_f64 v[4:5], v[26:27], 0
	v_fma_f64 v[26:27], v[42:43], v[8:9], -v[0:1]
	ds_read_b128 v[0:3], v35 offset:1024
	v_mul_f64 v[10:11], v[42:43], v[10:11]
	v_fmac_f64_e32 v[10:11], v[44:45], v[8:9]
	v_add_f64 v[8:9], v[4:5], v[26:27]
	v_add_f64 v[10:11], v[6:7], v[10:11]
	ds_read_b128 v[4:7], v35 offset:1536
	s_waitcnt lgkmcnt(1)
	v_mul_f64 v[26:27], v[2:3], v[14:15]
	v_fma_f64 v[26:27], v[0:1], v[12:13], -v[26:27]
	v_mul_f64 v[0:1], v[0:1], v[14:15]
	v_fmac_f64_e32 v[0:1], v[2:3], v[12:13]
	v_add_f64 v[10:11], v[10:11], v[0:1]
	s_waitcnt lgkmcnt(0)
	v_mul_f64 v[0:1], v[6:7], v[24:25]
	v_mul_f64 v[14:15], v[4:5], v[24:25]
	v_add_f64 v[8:9], v[8:9], v[26:27]
	v_fma_f64 v[12:13], v[4:5], v[22:23], -v[0:1]
	v_fmac_f64_e32 v[14:15], v[6:7], v[22:23]
	ds_read_b128 v[0:3], v33 offset:64
	ds_read_b128 v[4:7], v35 offset:2048
	v_add_f64 v[22:23], v[8:9], v[12:13]
	v_add_f64 v[24:25], v[10:11], v[14:15]
	ds_read_b128 v[8:11], v35 offset:2560
	ds_read_b128 v[12:15], v33 offset:80
	s_waitcnt lgkmcnt(2)
	v_mul_f64 v[26:27], v[6:7], v[2:3]
	v_mul_f64 v[2:3], v[4:5], v[2:3]
	v_fma_f64 v[26:27], v[4:5], v[0:1], -v[26:27]
	v_fmac_f64_e32 v[2:3], v[6:7], v[0:1]
	s_waitcnt lgkmcnt(0)
	v_mul_f64 v[0:1], v[10:11], v[14:15]
	v_add_f64 v[22:23], v[22:23], v[26:27]
	v_fma_f64 v[26:27], v[8:9], v[12:13], -v[0:1]
	v_mul_f64 v[8:9], v[8:9], v[14:15]
	v_add_f64 v[24:25], v[24:25], v[2:3]
	v_fmac_f64_e32 v[8:9], v[10:11], v[12:13]
	ds_read_b128 v[0:3], v33 offset:96
	ds_read_b128 v[4:7], v35 offset:3072
	v_add_f64 v[24:25], v[24:25], v[8:9]
	ds_read_b128 v[8:11], v35 offset:3584
	ds_read_b128 v[12:15], v33 offset:112
	v_add_f64 v[22:23], v[22:23], v[26:27]
	s_waitcnt lgkmcnt(2)
	v_mul_f64 v[26:27], v[6:7], v[2:3]
	v_mul_f64 v[2:3], v[4:5], v[2:3]
	v_fma_f64 v[26:27], v[4:5], v[0:1], -v[26:27]
	v_fmac_f64_e32 v[2:3], v[6:7], v[0:1]
	s_waitcnt lgkmcnt(0)
	v_mul_f64 v[0:1], v[10:11], v[14:15]
	v_add_f64 v[22:23], v[22:23], v[26:27]
	v_fma_f64 v[26:27], v[8:9], v[12:13], -v[0:1]
	v_mul_f64 v[8:9], v[8:9], v[14:15]
	v_add_f64 v[24:25], v[24:25], v[2:3]
	v_fmac_f64_e32 v[8:9], v[10:11], v[12:13]
	ds_read_b128 v[0:3], v33 offset:128
	ds_read_b128 v[4:7], v35 offset:4096
	v_add_f64 v[24:25], v[24:25], v[8:9]
	ds_read_b128 v[8:11], v35 offset:4608
	ds_read_b128 v[12:15], v33 offset:144
	v_add_f64 v[22:23], v[22:23], v[26:27]
	;; [unrolled: 18-line block ×8, first 2 shown]
	s_waitcnt lgkmcnt(2)
	v_mul_f64 v[26:27], v[6:7], v[2:3]
	v_mul_f64 v[2:3], v[4:5], v[2:3]
	v_fma_f64 v[26:27], v[4:5], v[0:1], -v[26:27]
	v_fmac_f64_e32 v[2:3], v[6:7], v[0:1]
	s_waitcnt lgkmcnt(0)
	v_mul_f64 v[0:1], v[10:11], v[14:15]
	v_add_f64 v[22:23], v[22:23], v[26:27]
	v_fma_f64 v[26:27], v[8:9], v[12:13], -v[0:1]
	v_mul_f64 v[8:9], v[8:9], v[14:15]
	v_add_f64 v[24:25], v[24:25], v[2:3]
	v_fmac_f64_e32 v[8:9], v[10:11], v[12:13]
	ds_read_b128 v[0:3], v33 offset:352
	ds_read_b128 v[4:7], v35 offset:11264
	v_add_f64 v[24:25], v[24:25], v[8:9]
	ds_read_b128 v[8:11], v35 offset:11776
	ds_read_b128 v[12:15], v33 offset:368
	global_load_dwordx4 v[42:45], v[20:21], off
	v_add_f64 v[22:23], v[22:23], v[26:27]
	s_waitcnt lgkmcnt(2)
	v_mul_f64 v[26:27], v[6:7], v[2:3]
	v_mul_f64 v[2:3], v[4:5], v[2:3]
	v_fma_f64 v[26:27], v[4:5], v[0:1], -v[26:27]
	v_fmac_f64_e32 v[2:3], v[6:7], v[0:1]
	s_waitcnt lgkmcnt(0)
	v_mul_f64 v[0:1], v[10:11], v[14:15]
	v_add_f64 v[22:23], v[22:23], v[26:27]
	v_fma_f64 v[26:27], v[8:9], v[12:13], -v[0:1]
	v_mul_f64 v[8:9], v[8:9], v[14:15]
	v_add_f64 v[24:25], v[24:25], v[2:3]
	v_fmac_f64_e32 v[8:9], v[10:11], v[12:13]
	ds_read_b128 v[0:3], v33 offset:384
	ds_read_b128 v[4:7], v35 offset:12288
	v_add_f64 v[24:25], v[24:25], v[8:9]
	ds_read_b128 v[8:11], v35 offset:12800
	ds_read_b128 v[12:15], v33 offset:400
	v_add_f64 v[22:23], v[22:23], v[26:27]
	s_waitcnt lgkmcnt(2)
	v_mul_f64 v[26:27], v[6:7], v[2:3]
	v_mul_f64 v[2:3], v[4:5], v[2:3]
	v_fma_f64 v[26:27], v[4:5], v[0:1], -v[26:27]
	v_fmac_f64_e32 v[2:3], v[6:7], v[0:1]
	s_waitcnt lgkmcnt(0)
	v_mul_f64 v[0:1], v[10:11], v[14:15]
	v_add_f64 v[22:23], v[22:23], v[26:27]
	v_fma_f64 v[26:27], v[8:9], v[12:13], -v[0:1]
	v_mul_f64 v[8:9], v[8:9], v[14:15]
	v_add_f64 v[24:25], v[24:25], v[2:3]
	v_fmac_f64_e32 v[8:9], v[10:11], v[12:13]
	ds_read_b128 v[0:3], v33 offset:416
	ds_read_b128 v[4:7], v35 offset:13312
	v_add_f64 v[24:25], v[24:25], v[8:9]
	ds_read_b128 v[8:11], v35 offset:13824
	ds_read_b128 v[12:15], v33 offset:432
	v_add_f64 v[22:23], v[22:23], v[26:27]
	s_waitcnt lgkmcnt(2)
	v_mul_f64 v[26:27], v[6:7], v[2:3]
	v_mul_f64 v[2:3], v[4:5], v[2:3]
	v_fma_f64 v[26:27], v[4:5], v[0:1], -v[26:27]
	v_fmac_f64_e32 v[2:3], v[6:7], v[0:1]
	s_waitcnt lgkmcnt(0)
	v_mul_f64 v[0:1], v[10:11], v[14:15]
	v_add_f64 v[22:23], v[22:23], v[26:27]
	v_fma_f64 v[26:27], v[8:9], v[12:13], -v[0:1]
	v_mul_f64 v[8:9], v[8:9], v[14:15]
	v_add_f64 v[24:25], v[24:25], v[2:3]
	v_fmac_f64_e32 v[8:9], v[10:11], v[12:13]
	ds_read_b128 v[0:3], v33 offset:448
	ds_read_b128 v[4:7], v35 offset:14336
	v_add_f64 v[24:25], v[24:25], v[8:9]
	ds_read_b128 v[8:11], v35 offset:14848
	ds_read_b128 v[12:15], v33 offset:464
	v_add_f64 v[22:23], v[22:23], v[26:27]
	s_waitcnt lgkmcnt(2)
	v_mul_f64 v[26:27], v[6:7], v[2:3]
	v_mul_f64 v[2:3], v[4:5], v[2:3]
	v_fma_f64 v[26:27], v[4:5], v[0:1], -v[26:27]
	v_fmac_f64_e32 v[2:3], v[6:7], v[0:1]
	s_waitcnt lgkmcnt(0)
	v_mul_f64 v[0:1], v[10:11], v[14:15]
	v_add_f64 v[22:23], v[22:23], v[26:27]
	v_fma_f64 v[26:27], v[8:9], v[12:13], -v[0:1]
	v_mul_f64 v[8:9], v[8:9], v[14:15]
	v_add_f64 v[24:25], v[24:25], v[2:3]
	v_fmac_f64_e32 v[8:9], v[10:11], v[12:13]
	ds_read_b128 v[0:3], v33 offset:480
	ds_read_b128 v[4:7], v35 offset:15360
	v_add_f64 v[24:25], v[24:25], v[8:9]
	ds_read_b128 v[8:11], v35 offset:15872
	ds_read_b128 v[12:15], v33 offset:496
	v_add_f64 v[22:23], v[22:23], v[26:27]
	s_waitcnt lgkmcnt(2)
	v_mul_f64 v[26:27], v[6:7], v[2:3]
	v_mul_f64 v[2:3], v[4:5], v[2:3]
	v_fma_f64 v[26:27], v[4:5], v[0:1], -v[26:27]
	v_fmac_f64_e32 v[2:3], v[6:7], v[0:1]
	s_waitcnt lgkmcnt(0)
	v_mul_f64 v[4:5], v[10:11], v[14:15]
	v_mul_f64 v[6:7], v[8:9], v[14:15]
	v_add_f64 v[0:1], v[22:23], v[26:27]
	v_add_f64 v[2:3], v[24:25], v[2:3]
	v_fma_f64 v[4:5], v[8:9], v[12:13], -v[4:5]
	v_fmac_f64_e32 v[6:7], v[10:11], v[12:13]
	v_add_f64 v[0:1], v[0:1], v[4:5]
	v_add_f64 v[2:3], v[2:3], v[6:7]
	v_mul_f64 v[4:5], s[14:15], v[2:3]
	v_mul_f64 v[6:7], s[14:15], v[0:1]
	v_fma_f64 v[4:5], s[12:13], v[0:1], -v[4:5]
	v_fmac_f64_e32 v[6:7], s[12:13], v[2:3]
	s_waitcnt vmcnt(0)
	v_add_f64 v[0:1], v[42:43], v[4:5]
	v_add_f64 v[2:3], v[44:45], v[6:7]
	global_store_dwordx4 v[20:21], v[0:3], off
	s_branch .LBB62_6
.LBB62_21:
	s_endpgm
	.section	.rodata,"a",@progbits
	.p2align	6, 0x0
	.amdhsa_kernel _ZL24rocblas_symm_hemm_kernelILb1ELb0ELi32E19rocblas_complex_numIdEPKPKS1_PKPS1_EvbiiT2_T3_lllSA_lllT4_llli
		.amdhsa_group_segment_fixed_size 32768
		.amdhsa_private_segment_fixed_size 0
		.amdhsa_kernarg_size 392
		.amdhsa_user_sgpr_count 6
		.amdhsa_user_sgpr_private_segment_buffer 1
		.amdhsa_user_sgpr_dispatch_ptr 0
		.amdhsa_user_sgpr_queue_ptr 0
		.amdhsa_user_sgpr_kernarg_segment_ptr 1
		.amdhsa_user_sgpr_dispatch_id 0
		.amdhsa_user_sgpr_flat_scratch_init 0
		.amdhsa_user_sgpr_kernarg_preload_length 0
		.amdhsa_user_sgpr_kernarg_preload_offset 0
		.amdhsa_user_sgpr_private_segment_size 0
		.amdhsa_uses_dynamic_stack 0
		.amdhsa_system_sgpr_private_segment_wavefront_offset 0
		.amdhsa_system_sgpr_workgroup_id_x 1
		.amdhsa_system_sgpr_workgroup_id_y 1
		.amdhsa_system_sgpr_workgroup_id_z 1
		.amdhsa_system_sgpr_workgroup_info 0
		.amdhsa_system_vgpr_workitem_id 1
		.amdhsa_next_free_vgpr 46
		.amdhsa_next_free_sgpr 35
		.amdhsa_accum_offset 48
		.amdhsa_reserve_vcc 1
		.amdhsa_reserve_flat_scratch 0
		.amdhsa_float_round_mode_32 0
		.amdhsa_float_round_mode_16_64 0
		.amdhsa_float_denorm_mode_32 3
		.amdhsa_float_denorm_mode_16_64 3
		.amdhsa_dx10_clamp 1
		.amdhsa_ieee_mode 1
		.amdhsa_fp16_overflow 0
		.amdhsa_tg_split 0
		.amdhsa_exception_fp_ieee_invalid_op 0
		.amdhsa_exception_fp_denorm_src 0
		.amdhsa_exception_fp_ieee_div_zero 0
		.amdhsa_exception_fp_ieee_overflow 0
		.amdhsa_exception_fp_ieee_underflow 0
		.amdhsa_exception_fp_ieee_inexact 0
		.amdhsa_exception_int_div_zero 0
	.end_amdhsa_kernel
	.section	.text._ZL24rocblas_symm_hemm_kernelILb1ELb0ELi32E19rocblas_complex_numIdEPKPKS1_PKPS1_EvbiiT2_T3_lllSA_lllT4_llli,"axG",@progbits,_ZL24rocblas_symm_hemm_kernelILb1ELb0ELi32E19rocblas_complex_numIdEPKPKS1_PKPS1_EvbiiT2_T3_lllSA_lllT4_llli,comdat
.Lfunc_end62:
	.size	_ZL24rocblas_symm_hemm_kernelILb1ELb0ELi32E19rocblas_complex_numIdEPKPKS1_PKPS1_EvbiiT2_T3_lllSA_lllT4_llli, .Lfunc_end62-_ZL24rocblas_symm_hemm_kernelILb1ELb0ELi32E19rocblas_complex_numIdEPKPKS1_PKPS1_EvbiiT2_T3_lllSA_lllT4_llli
                                        ; -- End function
	.section	.AMDGPU.csdata,"",@progbits
; Kernel info:
; codeLenInByte = 3124
; NumSgprs: 39
; NumVgprs: 46
; NumAgprs: 0
; TotalNumVgprs: 46
; ScratchSize: 0
; MemoryBound: 1
; FloatMode: 240
; IeeeMode: 1
; LDSByteSize: 32768 bytes/workgroup (compile time only)
; SGPRBlocks: 4
; VGPRBlocks: 5
; NumSGPRsForWavesPerEU: 39
; NumVGPRsForWavesPerEU: 46
; AccumOffset: 48
; Occupancy: 8
; WaveLimiterHint : 1
; COMPUTE_PGM_RSRC2:SCRATCH_EN: 0
; COMPUTE_PGM_RSRC2:USER_SGPR: 6
; COMPUTE_PGM_RSRC2:TRAP_HANDLER: 0
; COMPUTE_PGM_RSRC2:TGID_X_EN: 1
; COMPUTE_PGM_RSRC2:TGID_Y_EN: 1
; COMPUTE_PGM_RSRC2:TGID_Z_EN: 1
; COMPUTE_PGM_RSRC2:TIDIG_COMP_CNT: 1
; COMPUTE_PGM_RSRC3_GFX90A:ACCUM_OFFSET: 11
; COMPUTE_PGM_RSRC3_GFX90A:TG_SPLIT: 0
	.section	.text._ZL24rocblas_symm_hemm_kernelILb1ELb1ELi32E19rocblas_complex_numIdEPKPKS1_PKPS1_EvbiiT2_T3_lllSA_lllT4_llli,"axG",@progbits,_ZL24rocblas_symm_hemm_kernelILb1ELb1ELi32E19rocblas_complex_numIdEPKPKS1_PKPS1_EvbiiT2_T3_lllSA_lllT4_llli,comdat
	.globl	_ZL24rocblas_symm_hemm_kernelILb1ELb1ELi32E19rocblas_complex_numIdEPKPKS1_PKPS1_EvbiiT2_T3_lllSA_lllT4_llli ; -- Begin function _ZL24rocblas_symm_hemm_kernelILb1ELb1ELi32E19rocblas_complex_numIdEPKPKS1_PKPS1_EvbiiT2_T3_lllSA_lllT4_llli
	.p2align	8
	.type	_ZL24rocblas_symm_hemm_kernelILb1ELb1ELi32E19rocblas_complex_numIdEPKPKS1_PKPS1_EvbiiT2_T3_lllSA_lllT4_llli,@function
_ZL24rocblas_symm_hemm_kernelILb1ELb1ELi32E19rocblas_complex_numIdEPKPKS1_PKPS1_EvbiiT2_T3_lllSA_lllT4_llli: ; @_ZL24rocblas_symm_hemm_kernelILb1ELb1ELi32E19rocblas_complex_numIdEPKPKS1_PKPS1_EvbiiT2_T3_lllSA_lllT4_llli
; %bb.0:
	s_load_dwordx8 s[12:19], s[4:5], 0x10
	s_waitcnt lgkmcnt(0)
	v_cmp_eq_f64_e64 s[0:1], s[12:13], 0
	v_cmp_eq_f64_e64 s[2:3], s[14:15], 0
	s_and_b64 s[0:1], s[0:1], s[2:3]
	s_and_b64 vcc, exec, s[0:1]
	s_cbranch_vccnz .LBB63_21
; %bb.1:
	s_load_dwordx4 s[20:23], s[4:5], 0x0
	s_waitcnt lgkmcnt(0)
	s_add_i32 s0, s22, -1
	s_ashr_i32 s1, s0, 31
	s_lshr_b32 s1, s1, 27
	s_add_i32 s0, s0, s1
	s_ashr_i32 s23, s0, 5
	s_cmp_gt_i32 s7, s23
	s_cbranch_scc1 .LBB63_21
; %bb.2:
	s_mov_b32 s9, 0
	s_lshl_b64 s[8:9], s[8:9], 3
	s_add_u32 s28, s16, s8
	s_addc_u32 s29, s17, s9
	s_load_dwordx2 s[30:31], s[28:29], 0x0
	s_load_dwordx2 s[10:11], s[4:5], 0x30
	s_load_dwordx4 s[0:3], s[4:5], 0x40
	s_load_dwordx2 s[16:17], s[4:5], 0x50
	s_load_dwordx4 s[24:27], s[4:5], 0x60
	s_lshl_b64 s[18:19], s[18:19], 4
	s_waitcnt lgkmcnt(0)
	s_add_u32 s28, s30, s18
	s_addc_u32 s29, s31, s19
	s_add_u32 s0, s0, s8
	s_addc_u32 s1, s1, s9
	;; [unrolled: 2-line block ×3, first 2 shown]
	s_load_dwordx2 s[18:19], s[8:9], 0x0
	s_load_dwordx2 s[24:25], s[0:1], 0x0
	s_bitcmp1_b32 s20, 0
	s_cselect_b64 s[0:1], -1, 0
	s_lshl_b64 s[8:9], s[26:27], 4
	s_waitcnt lgkmcnt(0)
	s_add_u32 s8, s18, s8
	v_and_b32_e32 v28, 0x3ff, v0
	s_addc_u32 s9, s19, s9
	s_lshl_b64 s[2:3], s[2:3], 4
	v_lshl_add_u32 v2, s6, 5, v28
	s_add_u32 s18, s24, s2
	v_ashrrev_i32_e32 v3, 31, v2
	s_addc_u32 s19, s25, s3
	v_bfe_u32 v29, v0, 10, 10
	v_lshlrev_b64 v[0:1], 4, v[2:3]
	v_cmp_gt_i32_e64 s[2:3], s21, v2
	v_mov_b32_e32 v2, s19
	v_add_co_u32_e32 v30, vcc, s18, v0
	s_load_dwordx2 s[18:19], s[4:5], 0x70
	s_load_dword s6, s[4:5], 0x8c
	s_cmp_gt_i32 s22, 0
	v_addc_co_u32_e32 v31, vcc, v2, v1, vcc
	v_lshlrev_b32_e32 v2, 4, v29
	v_lshlrev_b32_e32 v32, 9, v28
	v_add_co_u32_e32 v36, vcc, s8, v0
	v_lshl_add_u32 v0, s7, 5, v29
	s_cselect_b64 s[4:5], -1, 0
	v_add_u32_e32 v33, v32, v2
	v_or_b32_e32 v34, 0x4000, v2
	v_mov_b32_e32 v2, s9
	v_sub_u32_e32 v38, 0, v0
	v_cndmask_b32_e64 v0, 0, 1, s[4:5]
	v_add_u32_e32 v35, v34, v32
	v_addc_co_u32_e32 v37, vcc, v2, v1, vcc
	s_waitcnt lgkmcnt(0)
	s_lshl_b32 s30, s6, 5
	v_cmp_ne_u32_e64 s[4:5], 1, v0
	s_branch .LBB63_4
.LBB63_3:                               ;   in Loop: Header=BB63_4 Depth=1
	s_add_i32 s7, s7, s6
	s_cmp_gt_i32 s7, s23
	v_subrev_u32_e32 v38, s30, v38
	s_cbranch_scc1 .LBB63_21
.LBB63_4:                               ; =>This Loop Header: Depth=1
                                        ;     Child Loop BB63_7 Depth 2
	s_and_b64 vcc, exec, s[4:5]
	s_cbranch_vccnz .LBB63_3
; %bb.5:                                ;   in Loop: Header=BB63_4 Depth=1
	v_lshl_add_u32 v16, s7, 5, v29
	v_ashrrev_i32_e32 v17, 31, v16
	v_mul_lo_u32 v2, v17, s10
	v_mul_lo_u32 v3, v16, s11
	v_mad_u64_u32 v[0:1], s[8:9], v16, s10, 0
	v_add3_u32 v1, v1, v3, v2
	v_lshlrev_b64 v[0:1], 4, v[0:1]
	v_mov_b32_e32 v2, s29
	v_add_co_u32_e32 v39, vcc, s28, v0
	v_addc_co_u32_e32 v40, vcc, v2, v1, vcc
	v_lshlrev_b64 v[0:1], 4, v[16:17]
	v_add_co_u32_e32 v41, vcc, s28, v0
	v_addc_co_u32_e32 v42, vcc, v2, v1, vcc
	v_mul_lo_u32 v4, v17, s18
	v_mul_lo_u32 v5, v16, s19
	v_mad_u64_u32 v[2:3], s[8:9], v16, s18, 0
	v_add3_u32 v3, v3, v5, v4
	v_cmp_gt_i32_e32 vcc, s22, v16
	v_lshlrev_b64 v[2:3], 4, v[2:3]
	s_and_b64 s[20:21], s[2:3], vcc
	v_add_co_u32_e32 v18, vcc, v36, v2
	v_addc_co_u32_e32 v19, vcc, v37, v3, vcc
	v_add_co_u32_e32 v20, vcc, v39, v0
	v_addc_co_u32_e32 v21, vcc, v40, v1, vcc
	v_add_u32_e32 v17, v28, v38
	s_mov_b32 s31, 0
	s_branch .LBB63_7
.LBB63_6:                               ;   in Loop: Header=BB63_7 Depth=2
	s_or_b64 exec, exec, s[8:9]
	s_add_i32 s31, s31, 32
	s_cmp_ge_i32 s31, s22
	s_barrier
	s_cbranch_scc1 .LBB63_3
.LBB63_7:                               ;   Parent Loop BB63_4 Depth=1
                                        ; =>  This Inner Loop Header: Depth=2
	v_add_u32_e32 v6, s31, v29
	v_cmp_gt_i32_e32 vcc, s22, v6
	v_pk_mov_b32 v[0:1], 0, 0
	s_and_b64 s[24:25], s[2:3], vcc
	v_pk_mov_b32 v[2:3], v[0:1], v[0:1] op_sel:[0,1]
	v_pk_mov_b32 v[4:5], v[0:1], v[0:1] op_sel:[0,1]
	s_and_saveexec_b64 s[8:9], s[24:25]
	s_cbranch_execz .LBB63_9
; %bb.8:                                ;   in Loop: Header=BB63_7 Depth=2
	v_ashrrev_i32_e32 v2, 31, v6
	v_mul_lo_u32 v4, v6, s17
	v_mul_lo_u32 v5, v2, s16
	v_mad_u64_u32 v[2:3], s[24:25], v6, s16, 0
	v_add3_u32 v3, v3, v4, v5
	v_lshlrev_b64 v[2:3], 4, v[2:3]
	v_add_co_u32_e32 v2, vcc, v30, v2
	v_addc_co_u32_e32 v3, vcc, v31, v3, vcc
	global_load_dwordx4 v[2:5], v[2:3], off
.LBB63_9:                               ;   in Loop: Header=BB63_7 Depth=2
	s_or_b64 exec, exec, s[8:9]
	s_waitcnt vmcnt(0)
	ds_write_b128 v33, v[2:5]
	v_add_u32_e32 v4, s31, v28
	v_cndmask_b32_e64 v2, v16, v4, s[0:1]
	v_cndmask_b32_e64 v3, v4, v16, s[0:1]
	v_cmp_gt_i32_e64 s[8:9], v2, v3
	v_cmp_le_i32_e32 vcc, v2, v3
	v_cndmask_b32_e64 v2, v4, v16, s[8:9]
	v_cndmask_b32_e64 v3, v16, v4, s[8:9]
	v_max_i32_e32 v2, v2, v3
	v_cmp_gt_i32_e64 s[8:9], s22, v2
	v_pk_mov_b32 v[2:3], v[0:1], v[0:1] op_sel:[0,1]
	s_and_saveexec_b64 s[24:25], s[8:9]
	s_cbranch_execz .LBB63_19
; %bb.10:                               ;   in Loop: Header=BB63_7 Depth=2
                                        ; implicit-def: $vgpr2_vgpr3
	s_and_saveexec_b64 s[8:9], vcc
	s_xor_b64 s[8:9], exec, s[8:9]
	s_cbranch_execz .LBB63_16
; %bb.11:                               ;   in Loop: Header=BB63_7 Depth=2
	v_add_u32_e32 v0, s31, v17
	v_cmp_ne_u32_e32 vcc, 0, v0
                                        ; implicit-def: $vgpr2_vgpr3
	s_and_saveexec_b64 s[26:27], vcc
	s_xor_b64 s[26:27], exec, s[26:27]
	s_cbranch_execz .LBB63_13
; %bb.12:                               ;   in Loop: Header=BB63_7 Depth=2
	v_ashrrev_i32_e32 v5, 31, v4
	v_lshlrev_b64 v[0:1], 4, v[4:5]
	v_add_co_u32_e32 v0, vcc, v39, v0
	v_addc_co_u32_e32 v1, vcc, v40, v1, vcc
	global_load_dwordx4 v[0:3], v[0:1], off
.LBB63_13:                              ;   in Loop: Header=BB63_7 Depth=2
	s_andn2_saveexec_b64 s[26:27], s[26:27]
	s_cbranch_execz .LBB63_15
; %bb.14:                               ;   in Loop: Header=BB63_7 Depth=2
	global_load_dwordx2 v[0:1], v[20:21], off
	s_waitcnt vmcnt(1)
	v_pk_mov_b32 v[2:3], 0, 0
.LBB63_15:                              ;   in Loop: Header=BB63_7 Depth=2
	s_or_b64 exec, exec, s[26:27]
                                        ; implicit-def: $vgpr4
.LBB63_16:                              ;   in Loop: Header=BB63_7 Depth=2
	s_andn2_saveexec_b64 s[8:9], s[8:9]
	s_cbranch_execz .LBB63_18
; %bb.17:                               ;   in Loop: Header=BB63_7 Depth=2
	s_waitcnt vmcnt(0)
	v_ashrrev_i32_e32 v0, 31, v4
	v_mul_lo_u32 v2, v4, s11
	v_mul_lo_u32 v3, v0, s10
	v_mad_u64_u32 v[0:1], s[26:27], v4, s10, 0
	v_add3_u32 v1, v1, v2, v3
	v_lshlrev_b64 v[0:1], 4, v[0:1]
	v_add_co_u32_e32 v0, vcc, v41, v0
	v_addc_co_u32_e32 v1, vcc, v42, v1, vcc
	global_load_dwordx4 v[0:3], v[0:1], off
	s_waitcnt vmcnt(0)
	v_xor_b32_e32 v3, 0x80000000, v3
.LBB63_18:                              ;   in Loop: Header=BB63_7 Depth=2
	s_or_b64 exec, exec, s[8:9]
.LBB63_19:                              ;   in Loop: Header=BB63_7 Depth=2
	s_or_b64 exec, exec, s[24:25]
	s_waitcnt vmcnt(0)
	ds_write_b128 v35, v[0:3]
	s_waitcnt lgkmcnt(0)
	s_barrier
	s_and_saveexec_b64 s[8:9], s[20:21]
	s_cbranch_execz .LBB63_6
; %bb.20:                               ;   in Loop: Header=BB63_7 Depth=2
	ds_read_b128 v[0:3], v34
	ds_read_b128 v[4:7], v32
	ds_read_b128 v[8:11], v32 offset:16
	ds_read_b128 v[12:15], v32 offset:32
	;; [unrolled: 1-line block ×4, first 2 shown]
	s_waitcnt lgkmcnt(4)
	v_mul_f64 v[26:27], v[2:3], v[6:7]
	v_fma_f64 v[26:27], v[0:1], v[4:5], -v[26:27]
	v_mul_f64 v[0:1], v[0:1], v[6:7]
	v_fmac_f64_e32 v[0:1], v[2:3], v[4:5]
	v_add_f64 v[6:7], v[0:1], 0
	s_waitcnt lgkmcnt(0)
	v_mul_f64 v[0:1], v[46:47], v[10:11]
	v_add_f64 v[4:5], v[26:27], 0
	v_fma_f64 v[26:27], v[44:45], v[8:9], -v[0:1]
	ds_read_b128 v[0:3], v34 offset:1024
	v_mul_f64 v[10:11], v[44:45], v[10:11]
	v_fmac_f64_e32 v[10:11], v[46:47], v[8:9]
	v_add_f64 v[8:9], v[4:5], v[26:27]
	v_add_f64 v[10:11], v[6:7], v[10:11]
	ds_read_b128 v[4:7], v34 offset:1536
	s_waitcnt lgkmcnt(1)
	v_mul_f64 v[26:27], v[2:3], v[14:15]
	v_fma_f64 v[26:27], v[0:1], v[12:13], -v[26:27]
	v_mul_f64 v[0:1], v[0:1], v[14:15]
	v_fmac_f64_e32 v[0:1], v[2:3], v[12:13]
	v_add_f64 v[10:11], v[10:11], v[0:1]
	s_waitcnt lgkmcnt(0)
	v_mul_f64 v[0:1], v[6:7], v[24:25]
	v_mul_f64 v[14:15], v[4:5], v[24:25]
	v_add_f64 v[8:9], v[8:9], v[26:27]
	v_fma_f64 v[12:13], v[4:5], v[22:23], -v[0:1]
	v_fmac_f64_e32 v[14:15], v[6:7], v[22:23]
	ds_read_b128 v[0:3], v32 offset:64
	ds_read_b128 v[4:7], v34 offset:2048
	v_add_f64 v[22:23], v[8:9], v[12:13]
	v_add_f64 v[24:25], v[10:11], v[14:15]
	ds_read_b128 v[8:11], v34 offset:2560
	ds_read_b128 v[12:15], v32 offset:80
	s_waitcnt lgkmcnt(2)
	v_mul_f64 v[26:27], v[6:7], v[2:3]
	v_mul_f64 v[2:3], v[4:5], v[2:3]
	v_fma_f64 v[26:27], v[4:5], v[0:1], -v[26:27]
	v_fmac_f64_e32 v[2:3], v[6:7], v[0:1]
	s_waitcnt lgkmcnt(0)
	v_mul_f64 v[0:1], v[10:11], v[14:15]
	v_add_f64 v[22:23], v[22:23], v[26:27]
	v_fma_f64 v[26:27], v[8:9], v[12:13], -v[0:1]
	v_mul_f64 v[8:9], v[8:9], v[14:15]
	v_add_f64 v[24:25], v[24:25], v[2:3]
	v_fmac_f64_e32 v[8:9], v[10:11], v[12:13]
	ds_read_b128 v[0:3], v32 offset:96
	ds_read_b128 v[4:7], v34 offset:3072
	v_add_f64 v[24:25], v[24:25], v[8:9]
	ds_read_b128 v[8:11], v34 offset:3584
	ds_read_b128 v[12:15], v32 offset:112
	v_add_f64 v[22:23], v[22:23], v[26:27]
	s_waitcnt lgkmcnt(2)
	v_mul_f64 v[26:27], v[6:7], v[2:3]
	v_mul_f64 v[2:3], v[4:5], v[2:3]
	v_fma_f64 v[26:27], v[4:5], v[0:1], -v[26:27]
	v_fmac_f64_e32 v[2:3], v[6:7], v[0:1]
	s_waitcnt lgkmcnt(0)
	v_mul_f64 v[0:1], v[10:11], v[14:15]
	v_add_f64 v[22:23], v[22:23], v[26:27]
	v_fma_f64 v[26:27], v[8:9], v[12:13], -v[0:1]
	v_mul_f64 v[8:9], v[8:9], v[14:15]
	v_add_f64 v[24:25], v[24:25], v[2:3]
	v_fmac_f64_e32 v[8:9], v[10:11], v[12:13]
	ds_read_b128 v[0:3], v32 offset:128
	ds_read_b128 v[4:7], v34 offset:4096
	v_add_f64 v[24:25], v[24:25], v[8:9]
	ds_read_b128 v[8:11], v34 offset:4608
	ds_read_b128 v[12:15], v32 offset:144
	v_add_f64 v[22:23], v[22:23], v[26:27]
	;; [unrolled: 18-line block ×8, first 2 shown]
	s_waitcnt lgkmcnt(2)
	v_mul_f64 v[26:27], v[6:7], v[2:3]
	v_mul_f64 v[2:3], v[4:5], v[2:3]
	v_fma_f64 v[26:27], v[4:5], v[0:1], -v[26:27]
	v_fmac_f64_e32 v[2:3], v[6:7], v[0:1]
	s_waitcnt lgkmcnt(0)
	v_mul_f64 v[0:1], v[10:11], v[14:15]
	v_add_f64 v[22:23], v[22:23], v[26:27]
	v_fma_f64 v[26:27], v[8:9], v[12:13], -v[0:1]
	v_mul_f64 v[8:9], v[8:9], v[14:15]
	v_add_f64 v[24:25], v[24:25], v[2:3]
	v_fmac_f64_e32 v[8:9], v[10:11], v[12:13]
	ds_read_b128 v[0:3], v32 offset:352
	ds_read_b128 v[4:7], v34 offset:11264
	v_add_f64 v[24:25], v[24:25], v[8:9]
	ds_read_b128 v[8:11], v34 offset:11776
	ds_read_b128 v[12:15], v32 offset:368
	global_load_dwordx4 v[44:47], v[18:19], off
	v_add_f64 v[22:23], v[22:23], v[26:27]
	s_waitcnt lgkmcnt(2)
	v_mul_f64 v[26:27], v[6:7], v[2:3]
	v_mul_f64 v[2:3], v[4:5], v[2:3]
	v_fma_f64 v[26:27], v[4:5], v[0:1], -v[26:27]
	v_fmac_f64_e32 v[2:3], v[6:7], v[0:1]
	s_waitcnt lgkmcnt(0)
	v_mul_f64 v[0:1], v[10:11], v[14:15]
	v_add_f64 v[22:23], v[22:23], v[26:27]
	v_fma_f64 v[26:27], v[8:9], v[12:13], -v[0:1]
	v_mul_f64 v[8:9], v[8:9], v[14:15]
	v_add_f64 v[24:25], v[24:25], v[2:3]
	v_fmac_f64_e32 v[8:9], v[10:11], v[12:13]
	ds_read_b128 v[0:3], v32 offset:384
	ds_read_b128 v[4:7], v34 offset:12288
	v_add_f64 v[24:25], v[24:25], v[8:9]
	ds_read_b128 v[8:11], v34 offset:12800
	ds_read_b128 v[12:15], v32 offset:400
	v_add_f64 v[22:23], v[22:23], v[26:27]
	s_waitcnt lgkmcnt(2)
	v_mul_f64 v[26:27], v[6:7], v[2:3]
	v_mul_f64 v[2:3], v[4:5], v[2:3]
	v_fma_f64 v[26:27], v[4:5], v[0:1], -v[26:27]
	v_fmac_f64_e32 v[2:3], v[6:7], v[0:1]
	s_waitcnt lgkmcnt(0)
	v_mul_f64 v[0:1], v[10:11], v[14:15]
	v_add_f64 v[22:23], v[22:23], v[26:27]
	v_fma_f64 v[26:27], v[8:9], v[12:13], -v[0:1]
	v_mul_f64 v[8:9], v[8:9], v[14:15]
	v_add_f64 v[24:25], v[24:25], v[2:3]
	v_fmac_f64_e32 v[8:9], v[10:11], v[12:13]
	ds_read_b128 v[0:3], v32 offset:416
	ds_read_b128 v[4:7], v34 offset:13312
	v_add_f64 v[24:25], v[24:25], v[8:9]
	ds_read_b128 v[8:11], v34 offset:13824
	ds_read_b128 v[12:15], v32 offset:432
	;; [unrolled: 18-line block ×4, first 2 shown]
	v_add_f64 v[22:23], v[22:23], v[26:27]
	s_waitcnt lgkmcnt(2)
	v_mul_f64 v[26:27], v[6:7], v[2:3]
	v_mul_f64 v[2:3], v[4:5], v[2:3]
	v_fma_f64 v[26:27], v[4:5], v[0:1], -v[26:27]
	v_fmac_f64_e32 v[2:3], v[6:7], v[0:1]
	s_waitcnt lgkmcnt(0)
	v_mul_f64 v[4:5], v[10:11], v[14:15]
	v_mul_f64 v[6:7], v[8:9], v[14:15]
	v_add_f64 v[0:1], v[22:23], v[26:27]
	v_add_f64 v[2:3], v[24:25], v[2:3]
	v_fma_f64 v[4:5], v[8:9], v[12:13], -v[4:5]
	v_fmac_f64_e32 v[6:7], v[10:11], v[12:13]
	v_add_f64 v[0:1], v[0:1], v[4:5]
	v_add_f64 v[2:3], v[2:3], v[6:7]
	v_mul_f64 v[4:5], s[14:15], v[2:3]
	v_mul_f64 v[6:7], s[14:15], v[0:1]
	v_fma_f64 v[4:5], s[12:13], v[0:1], -v[4:5]
	v_fmac_f64_e32 v[6:7], s[12:13], v[2:3]
	s_waitcnt vmcnt(0)
	v_add_f64 v[0:1], v[44:45], v[4:5]
	v_add_f64 v[2:3], v[46:47], v[6:7]
	global_store_dwordx4 v[18:19], v[0:3], off
	s_branch .LBB63_6
.LBB63_21:
	s_endpgm
	.section	.rodata,"a",@progbits
	.p2align	6, 0x0
	.amdhsa_kernel _ZL24rocblas_symm_hemm_kernelILb1ELb1ELi32E19rocblas_complex_numIdEPKPKS1_PKPS1_EvbiiT2_T3_lllSA_lllT4_llli
		.amdhsa_group_segment_fixed_size 32768
		.amdhsa_private_segment_fixed_size 0
		.amdhsa_kernarg_size 392
		.amdhsa_user_sgpr_count 6
		.amdhsa_user_sgpr_private_segment_buffer 1
		.amdhsa_user_sgpr_dispatch_ptr 0
		.amdhsa_user_sgpr_queue_ptr 0
		.amdhsa_user_sgpr_kernarg_segment_ptr 1
		.amdhsa_user_sgpr_dispatch_id 0
		.amdhsa_user_sgpr_flat_scratch_init 0
		.amdhsa_user_sgpr_kernarg_preload_length 0
		.amdhsa_user_sgpr_kernarg_preload_offset 0
		.amdhsa_user_sgpr_private_segment_size 0
		.amdhsa_uses_dynamic_stack 0
		.amdhsa_system_sgpr_private_segment_wavefront_offset 0
		.amdhsa_system_sgpr_workgroup_id_x 1
		.amdhsa_system_sgpr_workgroup_id_y 1
		.amdhsa_system_sgpr_workgroup_id_z 1
		.amdhsa_system_sgpr_workgroup_info 0
		.amdhsa_system_vgpr_workitem_id 1
		.amdhsa_next_free_vgpr 48
		.amdhsa_next_free_sgpr 32
		.amdhsa_accum_offset 48
		.amdhsa_reserve_vcc 1
		.amdhsa_reserve_flat_scratch 0
		.amdhsa_float_round_mode_32 0
		.amdhsa_float_round_mode_16_64 0
		.amdhsa_float_denorm_mode_32 3
		.amdhsa_float_denorm_mode_16_64 3
		.amdhsa_dx10_clamp 1
		.amdhsa_ieee_mode 1
		.amdhsa_fp16_overflow 0
		.amdhsa_tg_split 0
		.amdhsa_exception_fp_ieee_invalid_op 0
		.amdhsa_exception_fp_denorm_src 0
		.amdhsa_exception_fp_ieee_div_zero 0
		.amdhsa_exception_fp_ieee_overflow 0
		.amdhsa_exception_fp_ieee_underflow 0
		.amdhsa_exception_fp_ieee_inexact 0
		.amdhsa_exception_int_div_zero 0
	.end_amdhsa_kernel
	.section	.text._ZL24rocblas_symm_hemm_kernelILb1ELb1ELi32E19rocblas_complex_numIdEPKPKS1_PKPS1_EvbiiT2_T3_lllSA_lllT4_llli,"axG",@progbits,_ZL24rocblas_symm_hemm_kernelILb1ELb1ELi32E19rocblas_complex_numIdEPKPKS1_PKPS1_EvbiiT2_T3_lllSA_lllT4_llli,comdat
.Lfunc_end63:
	.size	_ZL24rocblas_symm_hemm_kernelILb1ELb1ELi32E19rocblas_complex_numIdEPKPKS1_PKPS1_EvbiiT2_T3_lllSA_lllT4_llli, .Lfunc_end63-_ZL24rocblas_symm_hemm_kernelILb1ELb1ELi32E19rocblas_complex_numIdEPKPKS1_PKPS1_EvbiiT2_T3_lllSA_lllT4_llli
                                        ; -- End function
	.section	.AMDGPU.csdata,"",@progbits
; Kernel info:
; codeLenInByte = 3104
; NumSgprs: 36
; NumVgprs: 48
; NumAgprs: 0
; TotalNumVgprs: 48
; ScratchSize: 0
; MemoryBound: 1
; FloatMode: 240
; IeeeMode: 1
; LDSByteSize: 32768 bytes/workgroup (compile time only)
; SGPRBlocks: 4
; VGPRBlocks: 5
; NumSGPRsForWavesPerEU: 36
; NumVGPRsForWavesPerEU: 48
; AccumOffset: 48
; Occupancy: 8
; WaveLimiterHint : 1
; COMPUTE_PGM_RSRC2:SCRATCH_EN: 0
; COMPUTE_PGM_RSRC2:USER_SGPR: 6
; COMPUTE_PGM_RSRC2:TRAP_HANDLER: 0
; COMPUTE_PGM_RSRC2:TGID_X_EN: 1
; COMPUTE_PGM_RSRC2:TGID_Y_EN: 1
; COMPUTE_PGM_RSRC2:TGID_Z_EN: 1
; COMPUTE_PGM_RSRC2:TIDIG_COMP_CNT: 1
; COMPUTE_PGM_RSRC3_GFX90A:ACCUM_OFFSET: 11
; COMPUTE_PGM_RSRC3_GFX90A:TG_SPLIT: 0
	.text
	.p2alignl 6, 3212836864
	.fill 256, 4, 3212836864
	.type	__hip_cuid_a4c1c955a2e00c5a,@object ; @__hip_cuid_a4c1c955a2e00c5a
	.section	.bss,"aw",@nobits
	.globl	__hip_cuid_a4c1c955a2e00c5a
__hip_cuid_a4c1c955a2e00c5a:
	.byte	0                               ; 0x0
	.size	__hip_cuid_a4c1c955a2e00c5a, 1

	.ident	"AMD clang version 19.0.0git (https://github.com/RadeonOpenCompute/llvm-project roc-6.4.0 25133 c7fe45cf4b819c5991fe208aaa96edf142730f1d)"
	.section	".note.GNU-stack","",@progbits
	.addrsig
	.addrsig_sym __hip_cuid_a4c1c955a2e00c5a
	.amdgpu_metadata
---
amdhsa.kernels:
  - .agpr_count:     0
    .args:
      - .offset:         0
        .size:           4
        .value_kind:     by_value
      - .offset:         4
        .size:           4
        .value_kind:     by_value
      - .address_space:  global
        .offset:         8
        .size:           8
        .value_kind:     global_buffer
      - .address_space:  global
        .offset:         16
        .size:           8
        .value_kind:     global_buffer
      - .offset:         24
        .size:           8
        .value_kind:     by_value
      - .offset:         32
        .size:           8
        .value_kind:     by_value
      - .offset:         40
        .size:           8
        .value_kind:     by_value
      - .offset:         48
        .size:           4
        .value_kind:     by_value
      - .offset:         56
        .size:           4
        .value_kind:     hidden_block_count_x
      - .offset:         60
        .size:           4
        .value_kind:     hidden_block_count_y
      - .offset:         64
        .size:           4
        .value_kind:     hidden_block_count_z
      - .offset:         68
        .size:           2
        .value_kind:     hidden_group_size_x
      - .offset:         70
        .size:           2
        .value_kind:     hidden_group_size_y
      - .offset:         72
        .size:           2
        .value_kind:     hidden_group_size_z
      - .offset:         74
        .size:           2
        .value_kind:     hidden_remainder_x
      - .offset:         76
        .size:           2
        .value_kind:     hidden_remainder_y
      - .offset:         78
        .size:           2
        .value_kind:     hidden_remainder_z
      - .offset:         96
        .size:           8
        .value_kind:     hidden_global_offset_x
      - .offset:         104
        .size:           8
        .value_kind:     hidden_global_offset_y
      - .offset:         112
        .size:           8
        .value_kind:     hidden_global_offset_z
      - .offset:         120
        .size:           2
        .value_kind:     hidden_grid_dims
    .group_segment_fixed_size: 0
    .kernarg_segment_align: 8
    .kernarg_segment_size: 312
    .language:       OpenCL C
    .language_version:
      - 2
      - 0
    .max_flat_workgroup_size: 1024
    .name:           _ZL25rocblas_symm_scale_kernelILi128ELi8EPKfPfEviiT1_T2_llli
    .private_segment_fixed_size: 0
    .sgpr_count:     24
    .sgpr_spill_count: 0
    .symbol:         _ZL25rocblas_symm_scale_kernelILi128ELi8EPKfPfEviiT1_T2_llli.kd
    .uniform_work_group_size: 1
    .uses_dynamic_stack: false
    .vgpr_count:     8
    .vgpr_spill_count: 0
    .wavefront_size: 64
  - .agpr_count:     0
    .args:
      - .offset:         0
        .size:           1
        .value_kind:     by_value
      - .offset:         4
        .size:           4
        .value_kind:     by_value
      - .offset:         8
        .size:           4
        .value_kind:     by_value
      - .address_space:  global
        .offset:         16
        .size:           8
        .value_kind:     global_buffer
      - .address_space:  global
        .offset:         24
        .size:           8
        .value_kind:     global_buffer
      - .offset:         32
        .size:           8
        .value_kind:     by_value
      - .offset:         40
        .size:           8
        .value_kind:     by_value
      - .offset:         48
        .size:           8
        .value_kind:     by_value
      - .address_space:  global
        .offset:         56
        .size:           8
        .value_kind:     global_buffer
      - .offset:         64
        .size:           8
        .value_kind:     by_value
      - .offset:         72
        .size:           8
        .value_kind:     by_value
      - .offset:         80
        .size:           8
        .value_kind:     by_value
      - .address_space:  global
        .offset:         88
        .size:           8
        .value_kind:     global_buffer
      - .offset:         96
        .size:           8
        .value_kind:     by_value
      - .offset:         104
        .size:           8
        .value_kind:     by_value
      - .offset:         112
        .size:           8
        .value_kind:     by_value
      - .offset:         120
        .size:           4
        .value_kind:     by_value
      - .offset:         128
        .size:           4
        .value_kind:     hidden_block_count_x
      - .offset:         132
        .size:           4
        .value_kind:     hidden_block_count_y
      - .offset:         136
        .size:           4
        .value_kind:     hidden_block_count_z
      - .offset:         140
        .size:           2
        .value_kind:     hidden_group_size_x
      - .offset:         142
        .size:           2
        .value_kind:     hidden_group_size_y
      - .offset:         144
        .size:           2
        .value_kind:     hidden_group_size_z
      - .offset:         146
        .size:           2
        .value_kind:     hidden_remainder_x
      - .offset:         148
        .size:           2
        .value_kind:     hidden_remainder_y
      - .offset:         150
        .size:           2
        .value_kind:     hidden_remainder_z
      - .offset:         168
        .size:           8
        .value_kind:     hidden_global_offset_x
      - .offset:         176
        .size:           8
        .value_kind:     hidden_global_offset_y
      - .offset:         184
        .size:           8
        .value_kind:     hidden_global_offset_z
      - .offset:         192
        .size:           2
        .value_kind:     hidden_grid_dims
    .group_segment_fixed_size: 8192
    .kernarg_segment_align: 8
    .kernarg_segment_size: 384
    .language:       OpenCL C
    .language_version:
      - 2
      - 0
    .max_flat_workgroup_size: 1024
    .name:           _ZL24rocblas_symm_hemm_kernelILb0ELb0ELi32EPKfS1_PfEvbiiT2_T3_lllS4_lllT4_llli
    .private_segment_fixed_size: 0
    .sgpr_count:     48
    .sgpr_spill_count: 0
    .symbol:         _ZL24rocblas_symm_hemm_kernelILb0ELb0ELi32EPKfS1_PfEvbiiT2_T3_lllS4_lllT4_llli.kd
    .uniform_work_group_size: 1
    .uses_dynamic_stack: false
    .vgpr_count:     40
    .vgpr_spill_count: 0
    .wavefront_size: 64
  - .agpr_count:     0
    .args:
      - .offset:         0
        .size:           1
        .value_kind:     by_value
      - .offset:         4
        .size:           4
        .value_kind:     by_value
      - .offset:         8
        .size:           4
        .value_kind:     by_value
      - .address_space:  global
        .offset:         16
        .size:           8
        .value_kind:     global_buffer
      - .address_space:  global
        .offset:         24
        .size:           8
        .value_kind:     global_buffer
      - .offset:         32
        .size:           8
        .value_kind:     by_value
      - .offset:         40
        .size:           8
        .value_kind:     by_value
      - .offset:         48
        .size:           8
        .value_kind:     by_value
      - .address_space:  global
        .offset:         56
        .size:           8
        .value_kind:     global_buffer
      - .offset:         64
        .size:           8
        .value_kind:     by_value
      - .offset:         72
        .size:           8
        .value_kind:     by_value
      - .offset:         80
        .size:           8
        .value_kind:     by_value
      - .address_space:  global
        .offset:         88
        .size:           8
        .value_kind:     global_buffer
      - .offset:         96
        .size:           8
        .value_kind:     by_value
      - .offset:         104
        .size:           8
        .value_kind:     by_value
      - .offset:         112
        .size:           8
        .value_kind:     by_value
      - .offset:         120
        .size:           4
        .value_kind:     by_value
      - .offset:         128
        .size:           4
        .value_kind:     hidden_block_count_x
      - .offset:         132
        .size:           4
        .value_kind:     hidden_block_count_y
      - .offset:         136
        .size:           4
        .value_kind:     hidden_block_count_z
      - .offset:         140
        .size:           2
        .value_kind:     hidden_group_size_x
      - .offset:         142
        .size:           2
        .value_kind:     hidden_group_size_y
      - .offset:         144
        .size:           2
        .value_kind:     hidden_group_size_z
      - .offset:         146
        .size:           2
        .value_kind:     hidden_remainder_x
      - .offset:         148
        .size:           2
        .value_kind:     hidden_remainder_y
      - .offset:         150
        .size:           2
        .value_kind:     hidden_remainder_z
      - .offset:         168
        .size:           8
        .value_kind:     hidden_global_offset_x
      - .offset:         176
        .size:           8
        .value_kind:     hidden_global_offset_y
      - .offset:         184
        .size:           8
        .value_kind:     hidden_global_offset_z
      - .offset:         192
        .size:           2
        .value_kind:     hidden_grid_dims
    .group_segment_fixed_size: 8192
    .kernarg_segment_align: 8
    .kernarg_segment_size: 384
    .language:       OpenCL C
    .language_version:
      - 2
      - 0
    .max_flat_workgroup_size: 1024
    .name:           _ZL24rocblas_symm_hemm_kernelILb0ELb1ELi32EPKfS1_PfEvbiiT2_T3_lllS4_lllT4_llli
    .private_segment_fixed_size: 0
    .sgpr_count:     48
    .sgpr_spill_count: 0
    .symbol:         _ZL24rocblas_symm_hemm_kernelILb0ELb1ELi32EPKfS1_PfEvbiiT2_T3_lllS4_lllT4_llli.kd
    .uniform_work_group_size: 1
    .uses_dynamic_stack: false
    .vgpr_count:     40
    .vgpr_spill_count: 0
    .wavefront_size: 64
  - .agpr_count:     0
    .args:
      - .offset:         0
        .size:           4
        .value_kind:     by_value
      - .offset:         4
        .size:           4
        .value_kind:     by_value
      - .offset:         8
        .size:           4
        .value_kind:     by_value
      - .address_space:  global
        .offset:         16
        .size:           8
        .value_kind:     global_buffer
      - .offset:         24
        .size:           8
        .value_kind:     by_value
      - .offset:         32
        .size:           8
        .value_kind:     by_value
      - .offset:         40
        .size:           8
        .value_kind:     by_value
      - .offset:         48
        .size:           4
        .value_kind:     by_value
      - .offset:         56
        .size:           4
        .value_kind:     hidden_block_count_x
      - .offset:         60
        .size:           4
        .value_kind:     hidden_block_count_y
      - .offset:         64
        .size:           4
        .value_kind:     hidden_block_count_z
      - .offset:         68
        .size:           2
        .value_kind:     hidden_group_size_x
      - .offset:         70
        .size:           2
        .value_kind:     hidden_group_size_y
      - .offset:         72
        .size:           2
        .value_kind:     hidden_group_size_z
      - .offset:         74
        .size:           2
        .value_kind:     hidden_remainder_x
      - .offset:         76
        .size:           2
        .value_kind:     hidden_remainder_y
      - .offset:         78
        .size:           2
        .value_kind:     hidden_remainder_z
      - .offset:         96
        .size:           8
        .value_kind:     hidden_global_offset_x
      - .offset:         104
        .size:           8
        .value_kind:     hidden_global_offset_y
      - .offset:         112
        .size:           8
        .value_kind:     hidden_global_offset_z
      - .offset:         120
        .size:           2
        .value_kind:     hidden_grid_dims
    .group_segment_fixed_size: 0
    .kernarg_segment_align: 8
    .kernarg_segment_size: 312
    .language:       OpenCL C
    .language_version:
      - 2
      - 0
    .max_flat_workgroup_size: 1024
    .name:           _ZL25rocblas_symm_scale_kernelILi128ELi8EfPfEviiT1_T2_llli
    .private_segment_fixed_size: 0
    .sgpr_count:     24
    .sgpr_spill_count: 0
    .symbol:         _ZL25rocblas_symm_scale_kernelILi128ELi8EfPfEviiT1_T2_llli.kd
    .uniform_work_group_size: 1
    .uses_dynamic_stack: false
    .vgpr_count:     8
    .vgpr_spill_count: 0
    .wavefront_size: 64
  - .agpr_count:     0
    .args:
      - .offset:         0
        .size:           1
        .value_kind:     by_value
      - .offset:         4
        .size:           4
        .value_kind:     by_value
      - .offset:         8
        .size:           4
        .value_kind:     by_value
      - .offset:         12
        .size:           4
        .value_kind:     by_value
      - .address_space:  global
        .offset:         16
        .size:           8
        .value_kind:     global_buffer
      - .offset:         24
        .size:           8
        .value_kind:     by_value
      - .offset:         32
        .size:           8
        .value_kind:     by_value
      - .offset:         40
        .size:           8
        .value_kind:     by_value
      - .address_space:  global
        .offset:         48
        .size:           8
        .value_kind:     global_buffer
      - .offset:         56
        .size:           8
        .value_kind:     by_value
      - .offset:         64
        .size:           8
        .value_kind:     by_value
      - .offset:         72
        .size:           8
        .value_kind:     by_value
      - .address_space:  global
        .offset:         80
        .size:           8
        .value_kind:     global_buffer
      - .offset:         88
        .size:           8
        .value_kind:     by_value
      - .offset:         96
        .size:           8
        .value_kind:     by_value
      - .offset:         104
        .size:           8
        .value_kind:     by_value
      - .offset:         112
        .size:           4
        .value_kind:     by_value
      - .offset:         120
        .size:           4
        .value_kind:     hidden_block_count_x
      - .offset:         124
        .size:           4
        .value_kind:     hidden_block_count_y
      - .offset:         128
        .size:           4
        .value_kind:     hidden_block_count_z
      - .offset:         132
        .size:           2
        .value_kind:     hidden_group_size_x
      - .offset:         134
        .size:           2
        .value_kind:     hidden_group_size_y
      - .offset:         136
        .size:           2
        .value_kind:     hidden_group_size_z
      - .offset:         138
        .size:           2
        .value_kind:     hidden_remainder_x
      - .offset:         140
        .size:           2
        .value_kind:     hidden_remainder_y
      - .offset:         142
        .size:           2
        .value_kind:     hidden_remainder_z
      - .offset:         160
        .size:           8
        .value_kind:     hidden_global_offset_x
      - .offset:         168
        .size:           8
        .value_kind:     hidden_global_offset_y
      - .offset:         176
        .size:           8
        .value_kind:     hidden_global_offset_z
      - .offset:         184
        .size:           2
        .value_kind:     hidden_grid_dims
    .group_segment_fixed_size: 8192
    .kernarg_segment_align: 8
    .kernarg_segment_size: 376
    .language:       OpenCL C
    .language_version:
      - 2
      - 0
    .max_flat_workgroup_size: 1024
    .name:           _ZL24rocblas_symm_hemm_kernelILb0ELb0ELi32EfPKfPfEvbiiT2_T3_lllS4_lllT4_llli
    .private_segment_fixed_size: 0
    .sgpr_count:     48
    .sgpr_spill_count: 0
    .symbol:         _ZL24rocblas_symm_hemm_kernelILb0ELb0ELi32EfPKfPfEvbiiT2_T3_lllS4_lllT4_llli.kd
    .uniform_work_group_size: 1
    .uses_dynamic_stack: false
    .vgpr_count:     40
    .vgpr_spill_count: 0
    .wavefront_size: 64
  - .agpr_count:     0
    .args:
      - .offset:         0
        .size:           1
        .value_kind:     by_value
      - .offset:         4
        .size:           4
        .value_kind:     by_value
      - .offset:         8
        .size:           4
        .value_kind:     by_value
      - .offset:         12
        .size:           4
        .value_kind:     by_value
      - .address_space:  global
        .offset:         16
        .size:           8
        .value_kind:     global_buffer
      - .offset:         24
        .size:           8
        .value_kind:     by_value
      - .offset:         32
        .size:           8
        .value_kind:     by_value
      - .offset:         40
        .size:           8
        .value_kind:     by_value
      - .address_space:  global
        .offset:         48
        .size:           8
        .value_kind:     global_buffer
      - .offset:         56
        .size:           8
        .value_kind:     by_value
      - .offset:         64
        .size:           8
        .value_kind:     by_value
      - .offset:         72
        .size:           8
        .value_kind:     by_value
      - .address_space:  global
        .offset:         80
        .size:           8
        .value_kind:     global_buffer
      - .offset:         88
        .size:           8
        .value_kind:     by_value
      - .offset:         96
        .size:           8
        .value_kind:     by_value
      - .offset:         104
        .size:           8
        .value_kind:     by_value
      - .offset:         112
        .size:           4
        .value_kind:     by_value
      - .offset:         120
        .size:           4
        .value_kind:     hidden_block_count_x
      - .offset:         124
        .size:           4
        .value_kind:     hidden_block_count_y
      - .offset:         128
        .size:           4
        .value_kind:     hidden_block_count_z
      - .offset:         132
        .size:           2
        .value_kind:     hidden_group_size_x
      - .offset:         134
        .size:           2
        .value_kind:     hidden_group_size_y
      - .offset:         136
        .size:           2
        .value_kind:     hidden_group_size_z
      - .offset:         138
        .size:           2
        .value_kind:     hidden_remainder_x
      - .offset:         140
        .size:           2
        .value_kind:     hidden_remainder_y
      - .offset:         142
        .size:           2
        .value_kind:     hidden_remainder_z
      - .offset:         160
        .size:           8
        .value_kind:     hidden_global_offset_x
      - .offset:         168
        .size:           8
        .value_kind:     hidden_global_offset_y
      - .offset:         176
        .size:           8
        .value_kind:     hidden_global_offset_z
      - .offset:         184
        .size:           2
        .value_kind:     hidden_grid_dims
    .group_segment_fixed_size: 8192
    .kernarg_segment_align: 8
    .kernarg_segment_size: 376
    .language:       OpenCL C
    .language_version:
      - 2
      - 0
    .max_flat_workgroup_size: 1024
    .name:           _ZL24rocblas_symm_hemm_kernelILb0ELb1ELi32EfPKfPfEvbiiT2_T3_lllS4_lllT4_llli
    .private_segment_fixed_size: 0
    .sgpr_count:     48
    .sgpr_spill_count: 0
    .symbol:         _ZL24rocblas_symm_hemm_kernelILb0ELb1ELi32EfPKfPfEvbiiT2_T3_lllS4_lllT4_llli.kd
    .uniform_work_group_size: 1
    .uses_dynamic_stack: false
    .vgpr_count:     40
    .vgpr_spill_count: 0
    .wavefront_size: 64
  - .agpr_count:     0
    .args:
      - .offset:         0
        .size:           4
        .value_kind:     by_value
      - .offset:         4
        .size:           4
        .value_kind:     by_value
      - .address_space:  global
        .offset:         8
        .size:           8
        .value_kind:     global_buffer
      - .address_space:  global
        .offset:         16
        .size:           8
        .value_kind:     global_buffer
      - .offset:         24
        .size:           8
        .value_kind:     by_value
      - .offset:         32
        .size:           8
        .value_kind:     by_value
      - .offset:         40
        .size:           8
        .value_kind:     by_value
      - .offset:         48
        .size:           4
        .value_kind:     by_value
      - .offset:         56
        .size:           4
        .value_kind:     hidden_block_count_x
      - .offset:         60
        .size:           4
        .value_kind:     hidden_block_count_y
      - .offset:         64
        .size:           4
        .value_kind:     hidden_block_count_z
      - .offset:         68
        .size:           2
        .value_kind:     hidden_group_size_x
      - .offset:         70
        .size:           2
        .value_kind:     hidden_group_size_y
      - .offset:         72
        .size:           2
        .value_kind:     hidden_group_size_z
      - .offset:         74
        .size:           2
        .value_kind:     hidden_remainder_x
      - .offset:         76
        .size:           2
        .value_kind:     hidden_remainder_y
      - .offset:         78
        .size:           2
        .value_kind:     hidden_remainder_z
      - .offset:         96
        .size:           8
        .value_kind:     hidden_global_offset_x
      - .offset:         104
        .size:           8
        .value_kind:     hidden_global_offset_y
      - .offset:         112
        .size:           8
        .value_kind:     hidden_global_offset_z
      - .offset:         120
        .size:           2
        .value_kind:     hidden_grid_dims
    .group_segment_fixed_size: 0
    .kernarg_segment_align: 8
    .kernarg_segment_size: 312
    .language:       OpenCL C
    .language_version:
      - 2
      - 0
    .max_flat_workgroup_size: 1024
    .name:           _ZL25rocblas_symm_scale_kernelILi128ELi8EPKdPdEviiT1_T2_llli
    .private_segment_fixed_size: 0
    .sgpr_count:     24
    .sgpr_spill_count: 0
    .symbol:         _ZL25rocblas_symm_scale_kernelILi128ELi8EPKdPdEviiT1_T2_llli.kd
    .uniform_work_group_size: 1
    .uses_dynamic_stack: false
    .vgpr_count:     8
    .vgpr_spill_count: 0
    .wavefront_size: 64
  - .agpr_count:     0
    .args:
      - .offset:         0
        .size:           1
        .value_kind:     by_value
      - .offset:         4
        .size:           4
        .value_kind:     by_value
      - .offset:         8
        .size:           4
        .value_kind:     by_value
      - .address_space:  global
        .offset:         16
        .size:           8
        .value_kind:     global_buffer
      - .address_space:  global
        .offset:         24
        .size:           8
        .value_kind:     global_buffer
      - .offset:         32
        .size:           8
        .value_kind:     by_value
      - .offset:         40
        .size:           8
        .value_kind:     by_value
      - .offset:         48
        .size:           8
        .value_kind:     by_value
      - .address_space:  global
        .offset:         56
        .size:           8
        .value_kind:     global_buffer
      - .offset:         64
        .size:           8
        .value_kind:     by_value
      - .offset:         72
        .size:           8
        .value_kind:     by_value
      - .offset:         80
        .size:           8
        .value_kind:     by_value
      - .address_space:  global
        .offset:         88
        .size:           8
        .value_kind:     global_buffer
      - .offset:         96
        .size:           8
        .value_kind:     by_value
      - .offset:         104
        .size:           8
        .value_kind:     by_value
      - .offset:         112
        .size:           8
        .value_kind:     by_value
      - .offset:         120
        .size:           4
        .value_kind:     by_value
      - .offset:         128
        .size:           4
        .value_kind:     hidden_block_count_x
      - .offset:         132
        .size:           4
        .value_kind:     hidden_block_count_y
      - .offset:         136
        .size:           4
        .value_kind:     hidden_block_count_z
      - .offset:         140
        .size:           2
        .value_kind:     hidden_group_size_x
      - .offset:         142
        .size:           2
        .value_kind:     hidden_group_size_y
      - .offset:         144
        .size:           2
        .value_kind:     hidden_group_size_z
      - .offset:         146
        .size:           2
        .value_kind:     hidden_remainder_x
      - .offset:         148
        .size:           2
        .value_kind:     hidden_remainder_y
      - .offset:         150
        .size:           2
        .value_kind:     hidden_remainder_z
      - .offset:         168
        .size:           8
        .value_kind:     hidden_global_offset_x
      - .offset:         176
        .size:           8
        .value_kind:     hidden_global_offset_y
      - .offset:         184
        .size:           8
        .value_kind:     hidden_global_offset_z
      - .offset:         192
        .size:           2
        .value_kind:     hidden_grid_dims
    .group_segment_fixed_size: 16384
    .kernarg_segment_align: 8
    .kernarg_segment_size: 384
    .language:       OpenCL C
    .language_version:
      - 2
      - 0
    .max_flat_workgroup_size: 1024
    .name:           _ZL24rocblas_symm_hemm_kernelILb0ELb0ELi32EPKdS1_PdEvbiiT2_T3_lllS4_lllT4_llli
    .private_segment_fixed_size: 0
    .sgpr_count:     48
    .sgpr_spill_count: 0
    .symbol:         _ZL24rocblas_symm_hemm_kernelILb0ELb0ELi32EPKdS1_PdEvbiiT2_T3_lllS4_lllT4_llli.kd
    .uniform_work_group_size: 1
    .uses_dynamic_stack: false
    .vgpr_count:     48
    .vgpr_spill_count: 0
    .wavefront_size: 64
  - .agpr_count:     0
    .args:
      - .offset:         0
        .size:           1
        .value_kind:     by_value
      - .offset:         4
        .size:           4
        .value_kind:     by_value
      - .offset:         8
        .size:           4
        .value_kind:     by_value
      - .address_space:  global
        .offset:         16
        .size:           8
        .value_kind:     global_buffer
      - .address_space:  global
        .offset:         24
        .size:           8
        .value_kind:     global_buffer
      - .offset:         32
        .size:           8
        .value_kind:     by_value
      - .offset:         40
        .size:           8
        .value_kind:     by_value
      - .offset:         48
        .size:           8
        .value_kind:     by_value
      - .address_space:  global
        .offset:         56
        .size:           8
        .value_kind:     global_buffer
      - .offset:         64
        .size:           8
        .value_kind:     by_value
      - .offset:         72
        .size:           8
        .value_kind:     by_value
      - .offset:         80
        .size:           8
        .value_kind:     by_value
      - .address_space:  global
        .offset:         88
        .size:           8
        .value_kind:     global_buffer
      - .offset:         96
        .size:           8
        .value_kind:     by_value
      - .offset:         104
        .size:           8
        .value_kind:     by_value
      - .offset:         112
        .size:           8
        .value_kind:     by_value
      - .offset:         120
        .size:           4
        .value_kind:     by_value
      - .offset:         128
        .size:           4
        .value_kind:     hidden_block_count_x
      - .offset:         132
        .size:           4
        .value_kind:     hidden_block_count_y
      - .offset:         136
        .size:           4
        .value_kind:     hidden_block_count_z
      - .offset:         140
        .size:           2
        .value_kind:     hidden_group_size_x
      - .offset:         142
        .size:           2
        .value_kind:     hidden_group_size_y
      - .offset:         144
        .size:           2
        .value_kind:     hidden_group_size_z
      - .offset:         146
        .size:           2
        .value_kind:     hidden_remainder_x
      - .offset:         148
        .size:           2
        .value_kind:     hidden_remainder_y
      - .offset:         150
        .size:           2
        .value_kind:     hidden_remainder_z
      - .offset:         168
        .size:           8
        .value_kind:     hidden_global_offset_x
      - .offset:         176
        .size:           8
        .value_kind:     hidden_global_offset_y
      - .offset:         184
        .size:           8
        .value_kind:     hidden_global_offset_z
      - .offset:         192
        .size:           2
        .value_kind:     hidden_grid_dims
    .group_segment_fixed_size: 16384
    .kernarg_segment_align: 8
    .kernarg_segment_size: 384
    .language:       OpenCL C
    .language_version:
      - 2
      - 0
    .max_flat_workgroup_size: 1024
    .name:           _ZL24rocblas_symm_hemm_kernelILb0ELb1ELi32EPKdS1_PdEvbiiT2_T3_lllS4_lllT4_llli
    .private_segment_fixed_size: 0
    .sgpr_count:     48
    .sgpr_spill_count: 0
    .symbol:         _ZL24rocblas_symm_hemm_kernelILb0ELb1ELi32EPKdS1_PdEvbiiT2_T3_lllS4_lllT4_llli.kd
    .uniform_work_group_size: 1
    .uses_dynamic_stack: false
    .vgpr_count:     48
    .vgpr_spill_count: 0
    .wavefront_size: 64
  - .agpr_count:     0
    .args:
      - .offset:         0
        .size:           4
        .value_kind:     by_value
      - .offset:         4
        .size:           4
        .value_kind:     by_value
      - .offset:         8
        .size:           8
        .value_kind:     by_value
      - .address_space:  global
        .offset:         16
        .size:           8
        .value_kind:     global_buffer
      - .offset:         24
        .size:           8
        .value_kind:     by_value
      - .offset:         32
        .size:           8
        .value_kind:     by_value
      - .offset:         40
        .size:           8
        .value_kind:     by_value
      - .offset:         48
        .size:           4
        .value_kind:     by_value
      - .offset:         56
        .size:           4
        .value_kind:     hidden_block_count_x
      - .offset:         60
        .size:           4
        .value_kind:     hidden_block_count_y
      - .offset:         64
        .size:           4
        .value_kind:     hidden_block_count_z
      - .offset:         68
        .size:           2
        .value_kind:     hidden_group_size_x
      - .offset:         70
        .size:           2
        .value_kind:     hidden_group_size_y
      - .offset:         72
        .size:           2
        .value_kind:     hidden_group_size_z
      - .offset:         74
        .size:           2
        .value_kind:     hidden_remainder_x
      - .offset:         76
        .size:           2
        .value_kind:     hidden_remainder_y
      - .offset:         78
        .size:           2
        .value_kind:     hidden_remainder_z
      - .offset:         96
        .size:           8
        .value_kind:     hidden_global_offset_x
      - .offset:         104
        .size:           8
        .value_kind:     hidden_global_offset_y
      - .offset:         112
        .size:           8
        .value_kind:     hidden_global_offset_z
      - .offset:         120
        .size:           2
        .value_kind:     hidden_grid_dims
    .group_segment_fixed_size: 0
    .kernarg_segment_align: 8
    .kernarg_segment_size: 312
    .language:       OpenCL C
    .language_version:
      - 2
      - 0
    .max_flat_workgroup_size: 1024
    .name:           _ZL25rocblas_symm_scale_kernelILi128ELi8EdPdEviiT1_T2_llli
    .private_segment_fixed_size: 0
    .sgpr_count:     24
    .sgpr_spill_count: 0
    .symbol:         _ZL25rocblas_symm_scale_kernelILi128ELi8EdPdEviiT1_T2_llli.kd
    .uniform_work_group_size: 1
    .uses_dynamic_stack: false
    .vgpr_count:     8
    .vgpr_spill_count: 0
    .wavefront_size: 64
  - .agpr_count:     0
    .args:
      - .offset:         0
        .size:           1
        .value_kind:     by_value
      - .offset:         4
        .size:           4
        .value_kind:     by_value
      - .offset:         8
        .size:           4
        .value_kind:     by_value
      - .offset:         16
        .size:           8
        .value_kind:     by_value
      - .address_space:  global
        .offset:         24
        .size:           8
        .value_kind:     global_buffer
      - .offset:         32
        .size:           8
        .value_kind:     by_value
      - .offset:         40
        .size:           8
        .value_kind:     by_value
      - .offset:         48
        .size:           8
        .value_kind:     by_value
      - .address_space:  global
        .offset:         56
        .size:           8
        .value_kind:     global_buffer
      - .offset:         64
        .size:           8
        .value_kind:     by_value
      - .offset:         72
        .size:           8
        .value_kind:     by_value
      - .offset:         80
        .size:           8
        .value_kind:     by_value
      - .address_space:  global
        .offset:         88
        .size:           8
        .value_kind:     global_buffer
      - .offset:         96
        .size:           8
        .value_kind:     by_value
      - .offset:         104
        .size:           8
        .value_kind:     by_value
      - .offset:         112
        .size:           8
        .value_kind:     by_value
      - .offset:         120
        .size:           4
        .value_kind:     by_value
      - .offset:         128
        .size:           4
        .value_kind:     hidden_block_count_x
      - .offset:         132
        .size:           4
        .value_kind:     hidden_block_count_y
      - .offset:         136
        .size:           4
        .value_kind:     hidden_block_count_z
      - .offset:         140
        .size:           2
        .value_kind:     hidden_group_size_x
      - .offset:         142
        .size:           2
        .value_kind:     hidden_group_size_y
      - .offset:         144
        .size:           2
        .value_kind:     hidden_group_size_z
      - .offset:         146
        .size:           2
        .value_kind:     hidden_remainder_x
      - .offset:         148
        .size:           2
        .value_kind:     hidden_remainder_y
      - .offset:         150
        .size:           2
        .value_kind:     hidden_remainder_z
      - .offset:         168
        .size:           8
        .value_kind:     hidden_global_offset_x
      - .offset:         176
        .size:           8
        .value_kind:     hidden_global_offset_y
      - .offset:         184
        .size:           8
        .value_kind:     hidden_global_offset_z
      - .offset:         192
        .size:           2
        .value_kind:     hidden_grid_dims
    .group_segment_fixed_size: 16384
    .kernarg_segment_align: 8
    .kernarg_segment_size: 384
    .language:       OpenCL C
    .language_version:
      - 2
      - 0
    .max_flat_workgroup_size: 1024
    .name:           _ZL24rocblas_symm_hemm_kernelILb0ELb0ELi32EdPKdPdEvbiiT2_T3_lllS4_lllT4_llli
    .private_segment_fixed_size: 0
    .sgpr_count:     48
    .sgpr_spill_count: 0
    .symbol:         _ZL24rocblas_symm_hemm_kernelILb0ELb0ELi32EdPKdPdEvbiiT2_T3_lllS4_lllT4_llli.kd
    .uniform_work_group_size: 1
    .uses_dynamic_stack: false
    .vgpr_count:     48
    .vgpr_spill_count: 0
    .wavefront_size: 64
  - .agpr_count:     0
    .args:
      - .offset:         0
        .size:           1
        .value_kind:     by_value
      - .offset:         4
        .size:           4
        .value_kind:     by_value
      - .offset:         8
        .size:           4
        .value_kind:     by_value
      - .offset:         16
        .size:           8
        .value_kind:     by_value
      - .address_space:  global
        .offset:         24
        .size:           8
        .value_kind:     global_buffer
      - .offset:         32
        .size:           8
        .value_kind:     by_value
      - .offset:         40
        .size:           8
        .value_kind:     by_value
      - .offset:         48
        .size:           8
        .value_kind:     by_value
      - .address_space:  global
        .offset:         56
        .size:           8
        .value_kind:     global_buffer
      - .offset:         64
        .size:           8
        .value_kind:     by_value
      - .offset:         72
        .size:           8
        .value_kind:     by_value
      - .offset:         80
        .size:           8
        .value_kind:     by_value
      - .address_space:  global
        .offset:         88
        .size:           8
        .value_kind:     global_buffer
      - .offset:         96
        .size:           8
        .value_kind:     by_value
      - .offset:         104
        .size:           8
        .value_kind:     by_value
      - .offset:         112
        .size:           8
        .value_kind:     by_value
      - .offset:         120
        .size:           4
        .value_kind:     by_value
      - .offset:         128
        .size:           4
        .value_kind:     hidden_block_count_x
      - .offset:         132
        .size:           4
        .value_kind:     hidden_block_count_y
      - .offset:         136
        .size:           4
        .value_kind:     hidden_block_count_z
      - .offset:         140
        .size:           2
        .value_kind:     hidden_group_size_x
      - .offset:         142
        .size:           2
        .value_kind:     hidden_group_size_y
      - .offset:         144
        .size:           2
        .value_kind:     hidden_group_size_z
      - .offset:         146
        .size:           2
        .value_kind:     hidden_remainder_x
      - .offset:         148
        .size:           2
        .value_kind:     hidden_remainder_y
      - .offset:         150
        .size:           2
        .value_kind:     hidden_remainder_z
      - .offset:         168
        .size:           8
        .value_kind:     hidden_global_offset_x
      - .offset:         176
        .size:           8
        .value_kind:     hidden_global_offset_y
      - .offset:         184
        .size:           8
        .value_kind:     hidden_global_offset_z
      - .offset:         192
        .size:           2
        .value_kind:     hidden_grid_dims
    .group_segment_fixed_size: 16384
    .kernarg_segment_align: 8
    .kernarg_segment_size: 384
    .language:       OpenCL C
    .language_version:
      - 2
      - 0
    .max_flat_workgroup_size: 1024
    .name:           _ZL24rocblas_symm_hemm_kernelILb0ELb1ELi32EdPKdPdEvbiiT2_T3_lllS4_lllT4_llli
    .private_segment_fixed_size: 0
    .sgpr_count:     48
    .sgpr_spill_count: 0
    .symbol:         _ZL24rocblas_symm_hemm_kernelILb0ELb1ELi32EdPKdPdEvbiiT2_T3_lllS4_lllT4_llli.kd
    .uniform_work_group_size: 1
    .uses_dynamic_stack: false
    .vgpr_count:     48
    .vgpr_spill_count: 0
    .wavefront_size: 64
  - .agpr_count:     0
    .args:
      - .offset:         0
        .size:           4
        .value_kind:     by_value
      - .offset:         4
        .size:           4
        .value_kind:     by_value
      - .address_space:  global
        .offset:         8
        .size:           8
        .value_kind:     global_buffer
      - .address_space:  global
        .offset:         16
        .size:           8
        .value_kind:     global_buffer
      - .offset:         24
        .size:           8
        .value_kind:     by_value
      - .offset:         32
        .size:           8
        .value_kind:     by_value
      - .offset:         40
        .size:           8
        .value_kind:     by_value
      - .offset:         48
        .size:           4
        .value_kind:     by_value
      - .offset:         56
        .size:           4
        .value_kind:     hidden_block_count_x
      - .offset:         60
        .size:           4
        .value_kind:     hidden_block_count_y
      - .offset:         64
        .size:           4
        .value_kind:     hidden_block_count_z
      - .offset:         68
        .size:           2
        .value_kind:     hidden_group_size_x
      - .offset:         70
        .size:           2
        .value_kind:     hidden_group_size_y
      - .offset:         72
        .size:           2
        .value_kind:     hidden_group_size_z
      - .offset:         74
        .size:           2
        .value_kind:     hidden_remainder_x
      - .offset:         76
        .size:           2
        .value_kind:     hidden_remainder_y
      - .offset:         78
        .size:           2
        .value_kind:     hidden_remainder_z
      - .offset:         96
        .size:           8
        .value_kind:     hidden_global_offset_x
      - .offset:         104
        .size:           8
        .value_kind:     hidden_global_offset_y
      - .offset:         112
        .size:           8
        .value_kind:     hidden_global_offset_z
      - .offset:         120
        .size:           2
        .value_kind:     hidden_grid_dims
    .group_segment_fixed_size: 0
    .kernarg_segment_align: 8
    .kernarg_segment_size: 312
    .language:       OpenCL C
    .language_version:
      - 2
      - 0
    .max_flat_workgroup_size: 1024
    .name:           _ZL25rocblas_symm_scale_kernelILi128ELi8EPK19rocblas_complex_numIfEPS1_EviiT1_T2_llli
    .private_segment_fixed_size: 0
    .sgpr_count:     25
    .sgpr_spill_count: 0
    .symbol:         _ZL25rocblas_symm_scale_kernelILi128ELi8EPK19rocblas_complex_numIfEPS1_EviiT1_T2_llli.kd
    .uniform_work_group_size: 1
    .uses_dynamic_stack: false
    .vgpr_count:     11
    .vgpr_spill_count: 0
    .wavefront_size: 64
  - .agpr_count:     0
    .args:
      - .offset:         0
        .size:           1
        .value_kind:     by_value
      - .offset:         4
        .size:           4
        .value_kind:     by_value
      - .offset:         8
        .size:           4
        .value_kind:     by_value
      - .address_space:  global
        .offset:         16
        .size:           8
        .value_kind:     global_buffer
      - .address_space:  global
        .offset:         24
        .size:           8
        .value_kind:     global_buffer
      - .offset:         32
        .size:           8
        .value_kind:     by_value
      - .offset:         40
        .size:           8
        .value_kind:     by_value
      - .offset:         48
        .size:           8
        .value_kind:     by_value
      - .address_space:  global
        .offset:         56
        .size:           8
        .value_kind:     global_buffer
      - .offset:         64
        .size:           8
        .value_kind:     by_value
      - .offset:         72
        .size:           8
        .value_kind:     by_value
      - .offset:         80
        .size:           8
        .value_kind:     by_value
      - .address_space:  global
        .offset:         88
        .size:           8
        .value_kind:     global_buffer
      - .offset:         96
        .size:           8
        .value_kind:     by_value
      - .offset:         104
        .size:           8
        .value_kind:     by_value
      - .offset:         112
        .size:           8
        .value_kind:     by_value
      - .offset:         120
        .size:           4
        .value_kind:     by_value
      - .offset:         128
        .size:           4
        .value_kind:     hidden_block_count_x
      - .offset:         132
        .size:           4
        .value_kind:     hidden_block_count_y
      - .offset:         136
        .size:           4
        .value_kind:     hidden_block_count_z
      - .offset:         140
        .size:           2
        .value_kind:     hidden_group_size_x
      - .offset:         142
        .size:           2
        .value_kind:     hidden_group_size_y
      - .offset:         144
        .size:           2
        .value_kind:     hidden_group_size_z
      - .offset:         146
        .size:           2
        .value_kind:     hidden_remainder_x
      - .offset:         148
        .size:           2
        .value_kind:     hidden_remainder_y
      - .offset:         150
        .size:           2
        .value_kind:     hidden_remainder_z
      - .offset:         168
        .size:           8
        .value_kind:     hidden_global_offset_x
      - .offset:         176
        .size:           8
        .value_kind:     hidden_global_offset_y
      - .offset:         184
        .size:           8
        .value_kind:     hidden_global_offset_z
      - .offset:         192
        .size:           2
        .value_kind:     hidden_grid_dims
    .group_segment_fixed_size: 16384
    .kernarg_segment_align: 8
    .kernarg_segment_size: 384
    .language:       OpenCL C
    .language_version:
      - 2
      - 0
    .max_flat_workgroup_size: 1024
    .name:           _ZL24rocblas_symm_hemm_kernelILb0ELb0ELi32EPK19rocblas_complex_numIfES3_PS1_EvbiiT2_T3_lllS6_lllT4_llli
    .private_segment_fixed_size: 0
    .sgpr_count:     48
    .sgpr_spill_count: 0
    .symbol:         _ZL24rocblas_symm_hemm_kernelILb0ELb0ELi32EPK19rocblas_complex_numIfES3_PS1_EvbiiT2_T3_lllS6_lllT4_llli.kd
    .uniform_work_group_size: 1
    .uses_dynamic_stack: false
    .vgpr_count:     40
    .vgpr_spill_count: 0
    .wavefront_size: 64
  - .agpr_count:     0
    .args:
      - .offset:         0
        .size:           1
        .value_kind:     by_value
      - .offset:         4
        .size:           4
        .value_kind:     by_value
      - .offset:         8
        .size:           4
        .value_kind:     by_value
      - .address_space:  global
        .offset:         16
        .size:           8
        .value_kind:     global_buffer
      - .address_space:  global
        .offset:         24
        .size:           8
        .value_kind:     global_buffer
      - .offset:         32
        .size:           8
        .value_kind:     by_value
      - .offset:         40
        .size:           8
        .value_kind:     by_value
      - .offset:         48
        .size:           8
        .value_kind:     by_value
      - .address_space:  global
        .offset:         56
        .size:           8
        .value_kind:     global_buffer
      - .offset:         64
        .size:           8
        .value_kind:     by_value
      - .offset:         72
        .size:           8
        .value_kind:     by_value
      - .offset:         80
        .size:           8
        .value_kind:     by_value
      - .address_space:  global
        .offset:         88
        .size:           8
        .value_kind:     global_buffer
      - .offset:         96
        .size:           8
        .value_kind:     by_value
      - .offset:         104
        .size:           8
        .value_kind:     by_value
      - .offset:         112
        .size:           8
        .value_kind:     by_value
      - .offset:         120
        .size:           4
        .value_kind:     by_value
      - .offset:         128
        .size:           4
        .value_kind:     hidden_block_count_x
      - .offset:         132
        .size:           4
        .value_kind:     hidden_block_count_y
      - .offset:         136
        .size:           4
        .value_kind:     hidden_block_count_z
      - .offset:         140
        .size:           2
        .value_kind:     hidden_group_size_x
      - .offset:         142
        .size:           2
        .value_kind:     hidden_group_size_y
      - .offset:         144
        .size:           2
        .value_kind:     hidden_group_size_z
      - .offset:         146
        .size:           2
        .value_kind:     hidden_remainder_x
      - .offset:         148
        .size:           2
        .value_kind:     hidden_remainder_y
      - .offset:         150
        .size:           2
        .value_kind:     hidden_remainder_z
      - .offset:         168
        .size:           8
        .value_kind:     hidden_global_offset_x
      - .offset:         176
        .size:           8
        .value_kind:     hidden_global_offset_y
      - .offset:         184
        .size:           8
        .value_kind:     hidden_global_offset_z
      - .offset:         192
        .size:           2
        .value_kind:     hidden_grid_dims
    .group_segment_fixed_size: 16384
    .kernarg_segment_align: 8
    .kernarg_segment_size: 384
    .language:       OpenCL C
    .language_version:
      - 2
      - 0
    .max_flat_workgroup_size: 1024
    .name:           _ZL24rocblas_symm_hemm_kernelILb0ELb1ELi32EPK19rocblas_complex_numIfES3_PS1_EvbiiT2_T3_lllS6_lllT4_llli
    .private_segment_fixed_size: 0
    .sgpr_count:     48
    .sgpr_spill_count: 0
    .symbol:         _ZL24rocblas_symm_hemm_kernelILb0ELb1ELi32EPK19rocblas_complex_numIfES3_PS1_EvbiiT2_T3_lllS6_lllT4_llli.kd
    .uniform_work_group_size: 1
    .uses_dynamic_stack: false
    .vgpr_count:     40
    .vgpr_spill_count: 0
    .wavefront_size: 64
  - .agpr_count:     0
    .args:
      - .offset:         0
        .size:           4
        .value_kind:     by_value
      - .offset:         4
        .size:           4
        .value_kind:     by_value
      - .offset:         8
        .size:           8
        .value_kind:     by_value
      - .address_space:  global
        .offset:         16
        .size:           8
        .value_kind:     global_buffer
      - .offset:         24
        .size:           8
        .value_kind:     by_value
      - .offset:         32
        .size:           8
        .value_kind:     by_value
      - .offset:         40
        .size:           8
        .value_kind:     by_value
      - .offset:         48
        .size:           4
        .value_kind:     by_value
      - .offset:         56
        .size:           4
        .value_kind:     hidden_block_count_x
      - .offset:         60
        .size:           4
        .value_kind:     hidden_block_count_y
      - .offset:         64
        .size:           4
        .value_kind:     hidden_block_count_z
      - .offset:         68
        .size:           2
        .value_kind:     hidden_group_size_x
      - .offset:         70
        .size:           2
        .value_kind:     hidden_group_size_y
      - .offset:         72
        .size:           2
        .value_kind:     hidden_group_size_z
      - .offset:         74
        .size:           2
        .value_kind:     hidden_remainder_x
      - .offset:         76
        .size:           2
        .value_kind:     hidden_remainder_y
      - .offset:         78
        .size:           2
        .value_kind:     hidden_remainder_z
      - .offset:         96
        .size:           8
        .value_kind:     hidden_global_offset_x
      - .offset:         104
        .size:           8
        .value_kind:     hidden_global_offset_y
      - .offset:         112
        .size:           8
        .value_kind:     hidden_global_offset_z
      - .offset:         120
        .size:           2
        .value_kind:     hidden_grid_dims
    .group_segment_fixed_size: 0
    .kernarg_segment_align: 8
    .kernarg_segment_size: 312
    .language:       OpenCL C
    .language_version:
      - 2
      - 0
    .max_flat_workgroup_size: 1024
    .name:           _ZL25rocblas_symm_scale_kernelILi128ELi8E19rocblas_complex_numIfEPS1_EviiT1_T2_llli
    .private_segment_fixed_size: 0
    .sgpr_count:     25
    .sgpr_spill_count: 0
    .symbol:         _ZL25rocblas_symm_scale_kernelILi128ELi8E19rocblas_complex_numIfEPS1_EviiT1_T2_llli.kd
    .uniform_work_group_size: 1
    .uses_dynamic_stack: false
    .vgpr_count:     11
    .vgpr_spill_count: 0
    .wavefront_size: 64
  - .agpr_count:     0
    .args:
      - .offset:         0
        .size:           1
        .value_kind:     by_value
      - .offset:         4
        .size:           4
        .value_kind:     by_value
      - .offset:         8
        .size:           4
        .value_kind:     by_value
      - .offset:         12
        .size:           8
        .value_kind:     by_value
      - .address_space:  global
        .offset:         24
        .size:           8
        .value_kind:     global_buffer
      - .offset:         32
        .size:           8
        .value_kind:     by_value
      - .offset:         40
        .size:           8
        .value_kind:     by_value
      - .offset:         48
        .size:           8
        .value_kind:     by_value
      - .address_space:  global
        .offset:         56
        .size:           8
        .value_kind:     global_buffer
      - .offset:         64
        .size:           8
        .value_kind:     by_value
      - .offset:         72
        .size:           8
        .value_kind:     by_value
      - .offset:         80
        .size:           8
        .value_kind:     by_value
      - .address_space:  global
        .offset:         88
        .size:           8
        .value_kind:     global_buffer
      - .offset:         96
        .size:           8
        .value_kind:     by_value
      - .offset:         104
        .size:           8
        .value_kind:     by_value
      - .offset:         112
        .size:           8
        .value_kind:     by_value
      - .offset:         120
        .size:           4
        .value_kind:     by_value
      - .offset:         128
        .size:           4
        .value_kind:     hidden_block_count_x
      - .offset:         132
        .size:           4
        .value_kind:     hidden_block_count_y
      - .offset:         136
        .size:           4
        .value_kind:     hidden_block_count_z
      - .offset:         140
        .size:           2
        .value_kind:     hidden_group_size_x
      - .offset:         142
        .size:           2
        .value_kind:     hidden_group_size_y
      - .offset:         144
        .size:           2
        .value_kind:     hidden_group_size_z
      - .offset:         146
        .size:           2
        .value_kind:     hidden_remainder_x
      - .offset:         148
        .size:           2
        .value_kind:     hidden_remainder_y
      - .offset:         150
        .size:           2
        .value_kind:     hidden_remainder_z
      - .offset:         168
        .size:           8
        .value_kind:     hidden_global_offset_x
      - .offset:         176
        .size:           8
        .value_kind:     hidden_global_offset_y
      - .offset:         184
        .size:           8
        .value_kind:     hidden_global_offset_z
      - .offset:         192
        .size:           2
        .value_kind:     hidden_grid_dims
    .group_segment_fixed_size: 16384
    .kernarg_segment_align: 8
    .kernarg_segment_size: 384
    .language:       OpenCL C
    .language_version:
      - 2
      - 0
    .max_flat_workgroup_size: 1024
    .name:           _ZL24rocblas_symm_hemm_kernelILb0ELb0ELi32E19rocblas_complex_numIfEPKS1_PS1_EvbiiT2_T3_lllS6_lllT4_llli
    .private_segment_fixed_size: 0
    .sgpr_count:     48
    .sgpr_spill_count: 0
    .symbol:         _ZL24rocblas_symm_hemm_kernelILb0ELb0ELi32E19rocblas_complex_numIfEPKS1_PS1_EvbiiT2_T3_lllS6_lllT4_llli.kd
    .uniform_work_group_size: 1
    .uses_dynamic_stack: false
    .vgpr_count:     40
    .vgpr_spill_count: 0
    .wavefront_size: 64
  - .agpr_count:     0
    .args:
      - .offset:         0
        .size:           1
        .value_kind:     by_value
      - .offset:         4
        .size:           4
        .value_kind:     by_value
      - .offset:         8
        .size:           4
        .value_kind:     by_value
      - .offset:         12
        .size:           8
        .value_kind:     by_value
      - .address_space:  global
        .offset:         24
        .size:           8
        .value_kind:     global_buffer
      - .offset:         32
        .size:           8
        .value_kind:     by_value
      - .offset:         40
        .size:           8
        .value_kind:     by_value
      - .offset:         48
        .size:           8
        .value_kind:     by_value
      - .address_space:  global
        .offset:         56
        .size:           8
        .value_kind:     global_buffer
      - .offset:         64
        .size:           8
        .value_kind:     by_value
      - .offset:         72
        .size:           8
        .value_kind:     by_value
      - .offset:         80
        .size:           8
        .value_kind:     by_value
      - .address_space:  global
        .offset:         88
        .size:           8
        .value_kind:     global_buffer
      - .offset:         96
        .size:           8
        .value_kind:     by_value
      - .offset:         104
        .size:           8
        .value_kind:     by_value
      - .offset:         112
        .size:           8
        .value_kind:     by_value
      - .offset:         120
        .size:           4
        .value_kind:     by_value
      - .offset:         128
        .size:           4
        .value_kind:     hidden_block_count_x
      - .offset:         132
        .size:           4
        .value_kind:     hidden_block_count_y
      - .offset:         136
        .size:           4
        .value_kind:     hidden_block_count_z
      - .offset:         140
        .size:           2
        .value_kind:     hidden_group_size_x
      - .offset:         142
        .size:           2
        .value_kind:     hidden_group_size_y
      - .offset:         144
        .size:           2
        .value_kind:     hidden_group_size_z
      - .offset:         146
        .size:           2
        .value_kind:     hidden_remainder_x
      - .offset:         148
        .size:           2
        .value_kind:     hidden_remainder_y
      - .offset:         150
        .size:           2
        .value_kind:     hidden_remainder_z
      - .offset:         168
        .size:           8
        .value_kind:     hidden_global_offset_x
      - .offset:         176
        .size:           8
        .value_kind:     hidden_global_offset_y
      - .offset:         184
        .size:           8
        .value_kind:     hidden_global_offset_z
      - .offset:         192
        .size:           2
        .value_kind:     hidden_grid_dims
    .group_segment_fixed_size: 16384
    .kernarg_segment_align: 8
    .kernarg_segment_size: 384
    .language:       OpenCL C
    .language_version:
      - 2
      - 0
    .max_flat_workgroup_size: 1024
    .name:           _ZL24rocblas_symm_hemm_kernelILb0ELb1ELi32E19rocblas_complex_numIfEPKS1_PS1_EvbiiT2_T3_lllS6_lllT4_llli
    .private_segment_fixed_size: 0
    .sgpr_count:     48
    .sgpr_spill_count: 0
    .symbol:         _ZL24rocblas_symm_hemm_kernelILb0ELb1ELi32E19rocblas_complex_numIfEPKS1_PS1_EvbiiT2_T3_lllS6_lllT4_llli.kd
    .uniform_work_group_size: 1
    .uses_dynamic_stack: false
    .vgpr_count:     40
    .vgpr_spill_count: 0
    .wavefront_size: 64
  - .agpr_count:     0
    .args:
      - .offset:         0
        .size:           4
        .value_kind:     by_value
      - .offset:         4
        .size:           4
        .value_kind:     by_value
      - .address_space:  global
        .offset:         8
        .size:           8
        .value_kind:     global_buffer
      - .address_space:  global
        .offset:         16
        .size:           8
        .value_kind:     global_buffer
      - .offset:         24
        .size:           8
        .value_kind:     by_value
      - .offset:         32
        .size:           8
        .value_kind:     by_value
      - .offset:         40
        .size:           8
        .value_kind:     by_value
      - .offset:         48
        .size:           4
        .value_kind:     by_value
      - .offset:         56
        .size:           4
        .value_kind:     hidden_block_count_x
      - .offset:         60
        .size:           4
        .value_kind:     hidden_block_count_y
      - .offset:         64
        .size:           4
        .value_kind:     hidden_block_count_z
      - .offset:         68
        .size:           2
        .value_kind:     hidden_group_size_x
      - .offset:         70
        .size:           2
        .value_kind:     hidden_group_size_y
      - .offset:         72
        .size:           2
        .value_kind:     hidden_group_size_z
      - .offset:         74
        .size:           2
        .value_kind:     hidden_remainder_x
      - .offset:         76
        .size:           2
        .value_kind:     hidden_remainder_y
      - .offset:         78
        .size:           2
        .value_kind:     hidden_remainder_z
      - .offset:         96
        .size:           8
        .value_kind:     hidden_global_offset_x
      - .offset:         104
        .size:           8
        .value_kind:     hidden_global_offset_y
      - .offset:         112
        .size:           8
        .value_kind:     hidden_global_offset_z
      - .offset:         120
        .size:           2
        .value_kind:     hidden_grid_dims
    .group_segment_fixed_size: 0
    .kernarg_segment_align: 8
    .kernarg_segment_size: 312
    .language:       OpenCL C
    .language_version:
      - 2
      - 0
    .max_flat_workgroup_size: 1024
    .name:           _ZL25rocblas_symm_scale_kernelILi128ELi8EPK19rocblas_complex_numIdEPS1_EviiT1_T2_llli
    .private_segment_fixed_size: 0
    .sgpr_count:     28
    .sgpr_spill_count: 0
    .symbol:         _ZL25rocblas_symm_scale_kernelILi128ELi8EPK19rocblas_complex_numIdEPS1_EviiT1_T2_llli.kd
    .uniform_work_group_size: 1
    .uses_dynamic_stack: false
    .vgpr_count:     14
    .vgpr_spill_count: 0
    .wavefront_size: 64
  - .agpr_count:     0
    .args:
      - .offset:         0
        .size:           1
        .value_kind:     by_value
      - .offset:         4
        .size:           4
        .value_kind:     by_value
      - .offset:         8
        .size:           4
        .value_kind:     by_value
      - .address_space:  global
        .offset:         16
        .size:           8
        .value_kind:     global_buffer
      - .address_space:  global
        .offset:         24
        .size:           8
        .value_kind:     global_buffer
      - .offset:         32
        .size:           8
        .value_kind:     by_value
      - .offset:         40
        .size:           8
        .value_kind:     by_value
      - .offset:         48
        .size:           8
        .value_kind:     by_value
      - .address_space:  global
        .offset:         56
        .size:           8
        .value_kind:     global_buffer
      - .offset:         64
        .size:           8
        .value_kind:     by_value
      - .offset:         72
        .size:           8
        .value_kind:     by_value
      - .offset:         80
        .size:           8
        .value_kind:     by_value
      - .address_space:  global
        .offset:         88
        .size:           8
        .value_kind:     global_buffer
      - .offset:         96
        .size:           8
        .value_kind:     by_value
      - .offset:         104
        .size:           8
        .value_kind:     by_value
      - .offset:         112
        .size:           8
        .value_kind:     by_value
      - .offset:         120
        .size:           4
        .value_kind:     by_value
      - .offset:         128
        .size:           4
        .value_kind:     hidden_block_count_x
      - .offset:         132
        .size:           4
        .value_kind:     hidden_block_count_y
      - .offset:         136
        .size:           4
        .value_kind:     hidden_block_count_z
      - .offset:         140
        .size:           2
        .value_kind:     hidden_group_size_x
      - .offset:         142
        .size:           2
        .value_kind:     hidden_group_size_y
      - .offset:         144
        .size:           2
        .value_kind:     hidden_group_size_z
      - .offset:         146
        .size:           2
        .value_kind:     hidden_remainder_x
      - .offset:         148
        .size:           2
        .value_kind:     hidden_remainder_y
      - .offset:         150
        .size:           2
        .value_kind:     hidden_remainder_z
      - .offset:         168
        .size:           8
        .value_kind:     hidden_global_offset_x
      - .offset:         176
        .size:           8
        .value_kind:     hidden_global_offset_y
      - .offset:         184
        .size:           8
        .value_kind:     hidden_global_offset_z
      - .offset:         192
        .size:           2
        .value_kind:     hidden_grid_dims
    .group_segment_fixed_size: 32768
    .kernarg_segment_align: 8
    .kernarg_segment_size: 384
    .language:       OpenCL C
    .language_version:
      - 2
      - 0
    .max_flat_workgroup_size: 1024
    .name:           _ZL24rocblas_symm_hemm_kernelILb0ELb0ELi32EPK19rocblas_complex_numIdES3_PS1_EvbiiT2_T3_lllS6_lllT4_llli
    .private_segment_fixed_size: 0
    .sgpr_count:     52
    .sgpr_spill_count: 0
    .symbol:         _ZL24rocblas_symm_hemm_kernelILb0ELb0ELi32EPK19rocblas_complex_numIdES3_PS1_EvbiiT2_T3_lllS6_lllT4_llli.kd
    .uniform_work_group_size: 1
    .uses_dynamic_stack: false
    .vgpr_count:     40
    .vgpr_spill_count: 0
    .wavefront_size: 64
  - .agpr_count:     0
    .args:
      - .offset:         0
        .size:           1
        .value_kind:     by_value
      - .offset:         4
        .size:           4
        .value_kind:     by_value
      - .offset:         8
        .size:           4
        .value_kind:     by_value
      - .address_space:  global
        .offset:         16
        .size:           8
        .value_kind:     global_buffer
      - .address_space:  global
        .offset:         24
        .size:           8
        .value_kind:     global_buffer
      - .offset:         32
        .size:           8
        .value_kind:     by_value
      - .offset:         40
        .size:           8
        .value_kind:     by_value
      - .offset:         48
        .size:           8
        .value_kind:     by_value
      - .address_space:  global
        .offset:         56
        .size:           8
        .value_kind:     global_buffer
      - .offset:         64
        .size:           8
        .value_kind:     by_value
      - .offset:         72
        .size:           8
        .value_kind:     by_value
      - .offset:         80
        .size:           8
        .value_kind:     by_value
      - .address_space:  global
        .offset:         88
        .size:           8
        .value_kind:     global_buffer
      - .offset:         96
        .size:           8
        .value_kind:     by_value
      - .offset:         104
        .size:           8
        .value_kind:     by_value
      - .offset:         112
        .size:           8
        .value_kind:     by_value
      - .offset:         120
        .size:           4
        .value_kind:     by_value
      - .offset:         128
        .size:           4
        .value_kind:     hidden_block_count_x
      - .offset:         132
        .size:           4
        .value_kind:     hidden_block_count_y
      - .offset:         136
        .size:           4
        .value_kind:     hidden_block_count_z
      - .offset:         140
        .size:           2
        .value_kind:     hidden_group_size_x
      - .offset:         142
        .size:           2
        .value_kind:     hidden_group_size_y
      - .offset:         144
        .size:           2
        .value_kind:     hidden_group_size_z
      - .offset:         146
        .size:           2
        .value_kind:     hidden_remainder_x
      - .offset:         148
        .size:           2
        .value_kind:     hidden_remainder_y
      - .offset:         150
        .size:           2
        .value_kind:     hidden_remainder_z
      - .offset:         168
        .size:           8
        .value_kind:     hidden_global_offset_x
      - .offset:         176
        .size:           8
        .value_kind:     hidden_global_offset_y
      - .offset:         184
        .size:           8
        .value_kind:     hidden_global_offset_z
      - .offset:         192
        .size:           2
        .value_kind:     hidden_grid_dims
    .group_segment_fixed_size: 32768
    .kernarg_segment_align: 8
    .kernarg_segment_size: 384
    .language:       OpenCL C
    .language_version:
      - 2
      - 0
    .max_flat_workgroup_size: 1024
    .name:           _ZL24rocblas_symm_hemm_kernelILb0ELb1ELi32EPK19rocblas_complex_numIdES3_PS1_EvbiiT2_T3_lllS6_lllT4_llli
    .private_segment_fixed_size: 0
    .sgpr_count:     52
    .sgpr_spill_count: 0
    .symbol:         _ZL24rocblas_symm_hemm_kernelILb0ELb1ELi32EPK19rocblas_complex_numIdES3_PS1_EvbiiT2_T3_lllS6_lllT4_llli.kd
    .uniform_work_group_size: 1
    .uses_dynamic_stack: false
    .vgpr_count:     40
    .vgpr_spill_count: 0
    .wavefront_size: 64
  - .agpr_count:     0
    .args:
      - .offset:         0
        .size:           4
        .value_kind:     by_value
      - .offset:         4
        .size:           4
        .value_kind:     by_value
      - .offset:         8
        .size:           16
        .value_kind:     by_value
      - .address_space:  global
        .offset:         24
        .size:           8
        .value_kind:     global_buffer
      - .offset:         32
        .size:           8
        .value_kind:     by_value
      - .offset:         40
        .size:           8
        .value_kind:     by_value
      - .offset:         48
        .size:           8
        .value_kind:     by_value
      - .offset:         56
        .size:           4
        .value_kind:     by_value
      - .offset:         64
        .size:           4
        .value_kind:     hidden_block_count_x
      - .offset:         68
        .size:           4
        .value_kind:     hidden_block_count_y
      - .offset:         72
        .size:           4
        .value_kind:     hidden_block_count_z
      - .offset:         76
        .size:           2
        .value_kind:     hidden_group_size_x
      - .offset:         78
        .size:           2
        .value_kind:     hidden_group_size_y
      - .offset:         80
        .size:           2
        .value_kind:     hidden_group_size_z
      - .offset:         82
        .size:           2
        .value_kind:     hidden_remainder_x
      - .offset:         84
        .size:           2
        .value_kind:     hidden_remainder_y
      - .offset:         86
        .size:           2
        .value_kind:     hidden_remainder_z
      - .offset:         104
        .size:           8
        .value_kind:     hidden_global_offset_x
      - .offset:         112
        .size:           8
        .value_kind:     hidden_global_offset_y
      - .offset:         120
        .size:           8
        .value_kind:     hidden_global_offset_z
      - .offset:         128
        .size:           2
        .value_kind:     hidden_grid_dims
    .group_segment_fixed_size: 0
    .kernarg_segment_align: 8
    .kernarg_segment_size: 320
    .language:       OpenCL C
    .language_version:
      - 2
      - 0
    .max_flat_workgroup_size: 1024
    .name:           _ZL25rocblas_symm_scale_kernelILi128ELi8E19rocblas_complex_numIdEPS1_EviiT1_T2_llli
    .private_segment_fixed_size: 0
    .sgpr_count:     26
    .sgpr_spill_count: 0
    .symbol:         _ZL25rocblas_symm_scale_kernelILi128ELi8E19rocblas_complex_numIdEPS1_EviiT1_T2_llli.kd
    .uniform_work_group_size: 1
    .uses_dynamic_stack: false
    .vgpr_count:     14
    .vgpr_spill_count: 0
    .wavefront_size: 64
  - .agpr_count:     0
    .args:
      - .offset:         0
        .size:           1
        .value_kind:     by_value
      - .offset:         4
        .size:           4
        .value_kind:     by_value
      - .offset:         8
        .size:           4
        .value_kind:     by_value
      - .offset:         16
        .size:           16
        .value_kind:     by_value
      - .address_space:  global
        .offset:         32
        .size:           8
        .value_kind:     global_buffer
      - .offset:         40
        .size:           8
        .value_kind:     by_value
      - .offset:         48
        .size:           8
        .value_kind:     by_value
      - .offset:         56
        .size:           8
        .value_kind:     by_value
      - .address_space:  global
        .offset:         64
        .size:           8
        .value_kind:     global_buffer
      - .offset:         72
        .size:           8
        .value_kind:     by_value
      - .offset:         80
        .size:           8
        .value_kind:     by_value
      - .offset:         88
        .size:           8
        .value_kind:     by_value
      - .address_space:  global
        .offset:         96
        .size:           8
        .value_kind:     global_buffer
      - .offset:         104
        .size:           8
        .value_kind:     by_value
      - .offset:         112
        .size:           8
        .value_kind:     by_value
      - .offset:         120
        .size:           8
        .value_kind:     by_value
      - .offset:         128
        .size:           4
        .value_kind:     by_value
      - .offset:         136
        .size:           4
        .value_kind:     hidden_block_count_x
      - .offset:         140
        .size:           4
        .value_kind:     hidden_block_count_y
      - .offset:         144
        .size:           4
        .value_kind:     hidden_block_count_z
      - .offset:         148
        .size:           2
        .value_kind:     hidden_group_size_x
      - .offset:         150
        .size:           2
        .value_kind:     hidden_group_size_y
      - .offset:         152
        .size:           2
        .value_kind:     hidden_group_size_z
      - .offset:         154
        .size:           2
        .value_kind:     hidden_remainder_x
      - .offset:         156
        .size:           2
        .value_kind:     hidden_remainder_y
      - .offset:         158
        .size:           2
        .value_kind:     hidden_remainder_z
      - .offset:         176
        .size:           8
        .value_kind:     hidden_global_offset_x
      - .offset:         184
        .size:           8
        .value_kind:     hidden_global_offset_y
      - .offset:         192
        .size:           8
        .value_kind:     hidden_global_offset_z
      - .offset:         200
        .size:           2
        .value_kind:     hidden_grid_dims
    .group_segment_fixed_size: 32768
    .kernarg_segment_align: 8
    .kernarg_segment_size: 392
    .language:       OpenCL C
    .language_version:
      - 2
      - 0
    .max_flat_workgroup_size: 1024
    .name:           _ZL24rocblas_symm_hemm_kernelILb0ELb0ELi32E19rocblas_complex_numIdEPKS1_PS1_EvbiiT2_T3_lllS6_lllT4_llli
    .private_segment_fixed_size: 0
    .sgpr_count:     48
    .sgpr_spill_count: 0
    .symbol:         _ZL24rocblas_symm_hemm_kernelILb0ELb0ELi32E19rocblas_complex_numIdEPKS1_PS1_EvbiiT2_T3_lllS6_lllT4_llli.kd
    .uniform_work_group_size: 1
    .uses_dynamic_stack: false
    .vgpr_count:     40
    .vgpr_spill_count: 0
    .wavefront_size: 64
  - .agpr_count:     0
    .args:
      - .offset:         0
        .size:           1
        .value_kind:     by_value
      - .offset:         4
        .size:           4
        .value_kind:     by_value
      - .offset:         8
        .size:           4
        .value_kind:     by_value
      - .offset:         16
        .size:           16
        .value_kind:     by_value
      - .address_space:  global
        .offset:         32
        .size:           8
        .value_kind:     global_buffer
      - .offset:         40
        .size:           8
        .value_kind:     by_value
      - .offset:         48
        .size:           8
        .value_kind:     by_value
      - .offset:         56
        .size:           8
        .value_kind:     by_value
      - .address_space:  global
        .offset:         64
        .size:           8
        .value_kind:     global_buffer
      - .offset:         72
        .size:           8
        .value_kind:     by_value
      - .offset:         80
        .size:           8
        .value_kind:     by_value
      - .offset:         88
        .size:           8
        .value_kind:     by_value
      - .address_space:  global
        .offset:         96
        .size:           8
        .value_kind:     global_buffer
      - .offset:         104
        .size:           8
        .value_kind:     by_value
      - .offset:         112
        .size:           8
        .value_kind:     by_value
      - .offset:         120
        .size:           8
        .value_kind:     by_value
      - .offset:         128
        .size:           4
        .value_kind:     by_value
      - .offset:         136
        .size:           4
        .value_kind:     hidden_block_count_x
      - .offset:         140
        .size:           4
        .value_kind:     hidden_block_count_y
      - .offset:         144
        .size:           4
        .value_kind:     hidden_block_count_z
      - .offset:         148
        .size:           2
        .value_kind:     hidden_group_size_x
      - .offset:         150
        .size:           2
        .value_kind:     hidden_group_size_y
      - .offset:         152
        .size:           2
        .value_kind:     hidden_group_size_z
      - .offset:         154
        .size:           2
        .value_kind:     hidden_remainder_x
      - .offset:         156
        .size:           2
        .value_kind:     hidden_remainder_y
      - .offset:         158
        .size:           2
        .value_kind:     hidden_remainder_z
      - .offset:         176
        .size:           8
        .value_kind:     hidden_global_offset_x
      - .offset:         184
        .size:           8
        .value_kind:     hidden_global_offset_y
      - .offset:         192
        .size:           8
        .value_kind:     hidden_global_offset_z
      - .offset:         200
        .size:           2
        .value_kind:     hidden_grid_dims
    .group_segment_fixed_size: 32768
    .kernarg_segment_align: 8
    .kernarg_segment_size: 392
    .language:       OpenCL C
    .language_version:
      - 2
      - 0
    .max_flat_workgroup_size: 1024
    .name:           _ZL24rocblas_symm_hemm_kernelILb0ELb1ELi32E19rocblas_complex_numIdEPKS1_PS1_EvbiiT2_T3_lllS6_lllT4_llli
    .private_segment_fixed_size: 0
    .sgpr_count:     48
    .sgpr_spill_count: 0
    .symbol:         _ZL24rocblas_symm_hemm_kernelILb0ELb1ELi32E19rocblas_complex_numIdEPKS1_PS1_EvbiiT2_T3_lllS6_lllT4_llli.kd
    .uniform_work_group_size: 1
    .uses_dynamic_stack: false
    .vgpr_count:     40
    .vgpr_spill_count: 0
    .wavefront_size: 64
  - .agpr_count:     0
    .args:
      - .offset:         0
        .size:           1
        .value_kind:     by_value
      - .offset:         4
        .size:           4
        .value_kind:     by_value
      - .offset:         8
        .size:           4
        .value_kind:     by_value
      - .address_space:  global
        .offset:         16
        .size:           8
        .value_kind:     global_buffer
      - .address_space:  global
        .offset:         24
        .size:           8
        .value_kind:     global_buffer
      - .offset:         32
        .size:           8
        .value_kind:     by_value
      - .offset:         40
        .size:           8
        .value_kind:     by_value
      - .offset:         48
        .size:           8
        .value_kind:     by_value
      - .address_space:  global
        .offset:         56
        .size:           8
        .value_kind:     global_buffer
      - .offset:         64
        .size:           8
        .value_kind:     by_value
      - .offset:         72
        .size:           8
        .value_kind:     by_value
      - .offset:         80
        .size:           8
        .value_kind:     by_value
      - .address_space:  global
        .offset:         88
        .size:           8
        .value_kind:     global_buffer
      - .offset:         96
        .size:           8
        .value_kind:     by_value
      - .offset:         104
        .size:           8
        .value_kind:     by_value
      - .offset:         112
        .size:           8
        .value_kind:     by_value
      - .offset:         120
        .size:           4
        .value_kind:     by_value
      - .offset:         128
        .size:           4
        .value_kind:     hidden_block_count_x
      - .offset:         132
        .size:           4
        .value_kind:     hidden_block_count_y
      - .offset:         136
        .size:           4
        .value_kind:     hidden_block_count_z
      - .offset:         140
        .size:           2
        .value_kind:     hidden_group_size_x
      - .offset:         142
        .size:           2
        .value_kind:     hidden_group_size_y
      - .offset:         144
        .size:           2
        .value_kind:     hidden_group_size_z
      - .offset:         146
        .size:           2
        .value_kind:     hidden_remainder_x
      - .offset:         148
        .size:           2
        .value_kind:     hidden_remainder_y
      - .offset:         150
        .size:           2
        .value_kind:     hidden_remainder_z
      - .offset:         168
        .size:           8
        .value_kind:     hidden_global_offset_x
      - .offset:         176
        .size:           8
        .value_kind:     hidden_global_offset_y
      - .offset:         184
        .size:           8
        .value_kind:     hidden_global_offset_z
      - .offset:         192
        .size:           2
        .value_kind:     hidden_grid_dims
    .group_segment_fixed_size: 16384
    .kernarg_segment_align: 8
    .kernarg_segment_size: 384
    .language:       OpenCL C
    .language_version:
      - 2
      - 0
    .max_flat_workgroup_size: 1024
    .name:           _ZL24rocblas_symm_hemm_kernelILb1ELb0ELi32EPK19rocblas_complex_numIfES3_PS1_EvbiiT2_T3_lllS6_lllT4_llli
    .private_segment_fixed_size: 0
    .sgpr_count:     48
    .sgpr_spill_count: 0
    .symbol:         _ZL24rocblas_symm_hemm_kernelILb1ELb0ELi32EPK19rocblas_complex_numIfES3_PS1_EvbiiT2_T3_lllS6_lllT4_llli.kd
    .uniform_work_group_size: 1
    .uses_dynamic_stack: false
    .vgpr_count:     44
    .vgpr_spill_count: 0
    .wavefront_size: 64
  - .agpr_count:     0
    .args:
      - .offset:         0
        .size:           1
        .value_kind:     by_value
      - .offset:         4
        .size:           4
        .value_kind:     by_value
      - .offset:         8
        .size:           4
        .value_kind:     by_value
      - .address_space:  global
        .offset:         16
        .size:           8
        .value_kind:     global_buffer
      - .address_space:  global
        .offset:         24
        .size:           8
        .value_kind:     global_buffer
      - .offset:         32
        .size:           8
        .value_kind:     by_value
      - .offset:         40
        .size:           8
        .value_kind:     by_value
      - .offset:         48
        .size:           8
        .value_kind:     by_value
      - .address_space:  global
        .offset:         56
        .size:           8
        .value_kind:     global_buffer
      - .offset:         64
        .size:           8
        .value_kind:     by_value
      - .offset:         72
        .size:           8
        .value_kind:     by_value
      - .offset:         80
        .size:           8
        .value_kind:     by_value
      - .address_space:  global
        .offset:         88
        .size:           8
        .value_kind:     global_buffer
      - .offset:         96
        .size:           8
        .value_kind:     by_value
      - .offset:         104
        .size:           8
        .value_kind:     by_value
      - .offset:         112
        .size:           8
        .value_kind:     by_value
      - .offset:         120
        .size:           4
        .value_kind:     by_value
      - .offset:         128
        .size:           4
        .value_kind:     hidden_block_count_x
      - .offset:         132
        .size:           4
        .value_kind:     hidden_block_count_y
      - .offset:         136
        .size:           4
        .value_kind:     hidden_block_count_z
      - .offset:         140
        .size:           2
        .value_kind:     hidden_group_size_x
      - .offset:         142
        .size:           2
        .value_kind:     hidden_group_size_y
      - .offset:         144
        .size:           2
        .value_kind:     hidden_group_size_z
      - .offset:         146
        .size:           2
        .value_kind:     hidden_remainder_x
      - .offset:         148
        .size:           2
        .value_kind:     hidden_remainder_y
      - .offset:         150
        .size:           2
        .value_kind:     hidden_remainder_z
      - .offset:         168
        .size:           8
        .value_kind:     hidden_global_offset_x
      - .offset:         176
        .size:           8
        .value_kind:     hidden_global_offset_y
      - .offset:         184
        .size:           8
        .value_kind:     hidden_global_offset_z
      - .offset:         192
        .size:           2
        .value_kind:     hidden_grid_dims
    .group_segment_fixed_size: 16384
    .kernarg_segment_align: 8
    .kernarg_segment_size: 384
    .language:       OpenCL C
    .language_version:
      - 2
      - 0
    .max_flat_workgroup_size: 1024
    .name:           _ZL24rocblas_symm_hemm_kernelILb1ELb1ELi32EPK19rocblas_complex_numIfES3_PS1_EvbiiT2_T3_lllS6_lllT4_llli
    .private_segment_fixed_size: 0
    .sgpr_count:     48
    .sgpr_spill_count: 0
    .symbol:         _ZL24rocblas_symm_hemm_kernelILb1ELb1ELi32EPK19rocblas_complex_numIfES3_PS1_EvbiiT2_T3_lllS6_lllT4_llli.kd
    .uniform_work_group_size: 1
    .uses_dynamic_stack: false
    .vgpr_count:     46
    .vgpr_spill_count: 0
    .wavefront_size: 64
  - .agpr_count:     0
    .args:
      - .offset:         0
        .size:           1
        .value_kind:     by_value
      - .offset:         4
        .size:           4
        .value_kind:     by_value
      - .offset:         8
        .size:           4
        .value_kind:     by_value
      - .offset:         12
        .size:           8
        .value_kind:     by_value
      - .address_space:  global
        .offset:         24
        .size:           8
        .value_kind:     global_buffer
      - .offset:         32
        .size:           8
        .value_kind:     by_value
      - .offset:         40
        .size:           8
        .value_kind:     by_value
      - .offset:         48
        .size:           8
        .value_kind:     by_value
      - .address_space:  global
        .offset:         56
        .size:           8
        .value_kind:     global_buffer
      - .offset:         64
        .size:           8
        .value_kind:     by_value
      - .offset:         72
        .size:           8
        .value_kind:     by_value
      - .offset:         80
        .size:           8
        .value_kind:     by_value
      - .address_space:  global
        .offset:         88
        .size:           8
        .value_kind:     global_buffer
      - .offset:         96
        .size:           8
        .value_kind:     by_value
      - .offset:         104
        .size:           8
        .value_kind:     by_value
      - .offset:         112
        .size:           8
        .value_kind:     by_value
      - .offset:         120
        .size:           4
        .value_kind:     by_value
      - .offset:         128
        .size:           4
        .value_kind:     hidden_block_count_x
      - .offset:         132
        .size:           4
        .value_kind:     hidden_block_count_y
      - .offset:         136
        .size:           4
        .value_kind:     hidden_block_count_z
      - .offset:         140
        .size:           2
        .value_kind:     hidden_group_size_x
      - .offset:         142
        .size:           2
        .value_kind:     hidden_group_size_y
      - .offset:         144
        .size:           2
        .value_kind:     hidden_group_size_z
      - .offset:         146
        .size:           2
        .value_kind:     hidden_remainder_x
      - .offset:         148
        .size:           2
        .value_kind:     hidden_remainder_y
      - .offset:         150
        .size:           2
        .value_kind:     hidden_remainder_z
      - .offset:         168
        .size:           8
        .value_kind:     hidden_global_offset_x
      - .offset:         176
        .size:           8
        .value_kind:     hidden_global_offset_y
      - .offset:         184
        .size:           8
        .value_kind:     hidden_global_offset_z
      - .offset:         192
        .size:           2
        .value_kind:     hidden_grid_dims
    .group_segment_fixed_size: 16384
    .kernarg_segment_align: 8
    .kernarg_segment_size: 384
    .language:       OpenCL C
    .language_version:
      - 2
      - 0
    .max_flat_workgroup_size: 1024
    .name:           _ZL24rocblas_symm_hemm_kernelILb1ELb0ELi32E19rocblas_complex_numIfEPKS1_PS1_EvbiiT2_T3_lllS6_lllT4_llli
    .private_segment_fixed_size: 0
    .sgpr_count:     48
    .sgpr_spill_count: 0
    .symbol:         _ZL24rocblas_symm_hemm_kernelILb1ELb0ELi32E19rocblas_complex_numIfEPKS1_PS1_EvbiiT2_T3_lllS6_lllT4_llli.kd
    .uniform_work_group_size: 1
    .uses_dynamic_stack: false
    .vgpr_count:     44
    .vgpr_spill_count: 0
    .wavefront_size: 64
  - .agpr_count:     0
    .args:
      - .offset:         0
        .size:           1
        .value_kind:     by_value
      - .offset:         4
        .size:           4
        .value_kind:     by_value
      - .offset:         8
        .size:           4
        .value_kind:     by_value
      - .offset:         12
        .size:           8
        .value_kind:     by_value
      - .address_space:  global
        .offset:         24
        .size:           8
        .value_kind:     global_buffer
      - .offset:         32
        .size:           8
        .value_kind:     by_value
      - .offset:         40
        .size:           8
        .value_kind:     by_value
      - .offset:         48
        .size:           8
        .value_kind:     by_value
      - .address_space:  global
        .offset:         56
        .size:           8
        .value_kind:     global_buffer
      - .offset:         64
        .size:           8
        .value_kind:     by_value
      - .offset:         72
        .size:           8
        .value_kind:     by_value
      - .offset:         80
        .size:           8
        .value_kind:     by_value
      - .address_space:  global
        .offset:         88
        .size:           8
        .value_kind:     global_buffer
      - .offset:         96
        .size:           8
        .value_kind:     by_value
      - .offset:         104
        .size:           8
        .value_kind:     by_value
      - .offset:         112
        .size:           8
        .value_kind:     by_value
      - .offset:         120
        .size:           4
        .value_kind:     by_value
      - .offset:         128
        .size:           4
        .value_kind:     hidden_block_count_x
      - .offset:         132
        .size:           4
        .value_kind:     hidden_block_count_y
      - .offset:         136
        .size:           4
        .value_kind:     hidden_block_count_z
      - .offset:         140
        .size:           2
        .value_kind:     hidden_group_size_x
      - .offset:         142
        .size:           2
        .value_kind:     hidden_group_size_y
      - .offset:         144
        .size:           2
        .value_kind:     hidden_group_size_z
      - .offset:         146
        .size:           2
        .value_kind:     hidden_remainder_x
      - .offset:         148
        .size:           2
        .value_kind:     hidden_remainder_y
      - .offset:         150
        .size:           2
        .value_kind:     hidden_remainder_z
      - .offset:         168
        .size:           8
        .value_kind:     hidden_global_offset_x
      - .offset:         176
        .size:           8
        .value_kind:     hidden_global_offset_y
      - .offset:         184
        .size:           8
        .value_kind:     hidden_global_offset_z
      - .offset:         192
        .size:           2
        .value_kind:     hidden_grid_dims
    .group_segment_fixed_size: 16384
    .kernarg_segment_align: 8
    .kernarg_segment_size: 384
    .language:       OpenCL C
    .language_version:
      - 2
      - 0
    .max_flat_workgroup_size: 1024
    .name:           _ZL24rocblas_symm_hemm_kernelILb1ELb1ELi32E19rocblas_complex_numIfEPKS1_PS1_EvbiiT2_T3_lllS6_lllT4_llli
    .private_segment_fixed_size: 0
    .sgpr_count:     48
    .sgpr_spill_count: 0
    .symbol:         _ZL24rocblas_symm_hemm_kernelILb1ELb1ELi32E19rocblas_complex_numIfEPKS1_PS1_EvbiiT2_T3_lllS6_lllT4_llli.kd
    .uniform_work_group_size: 1
    .uses_dynamic_stack: false
    .vgpr_count:     46
    .vgpr_spill_count: 0
    .wavefront_size: 64
  - .agpr_count:     0
    .args:
      - .offset:         0
        .size:           1
        .value_kind:     by_value
      - .offset:         4
        .size:           4
        .value_kind:     by_value
      - .offset:         8
        .size:           4
        .value_kind:     by_value
      - .address_space:  global
        .offset:         16
        .size:           8
        .value_kind:     global_buffer
      - .address_space:  global
        .offset:         24
        .size:           8
        .value_kind:     global_buffer
      - .offset:         32
        .size:           8
        .value_kind:     by_value
      - .offset:         40
        .size:           8
        .value_kind:     by_value
      - .offset:         48
        .size:           8
        .value_kind:     by_value
      - .address_space:  global
        .offset:         56
        .size:           8
        .value_kind:     global_buffer
      - .offset:         64
        .size:           8
        .value_kind:     by_value
      - .offset:         72
        .size:           8
        .value_kind:     by_value
      - .offset:         80
        .size:           8
        .value_kind:     by_value
      - .address_space:  global
        .offset:         88
        .size:           8
        .value_kind:     global_buffer
      - .offset:         96
        .size:           8
        .value_kind:     by_value
      - .offset:         104
        .size:           8
        .value_kind:     by_value
      - .offset:         112
        .size:           8
        .value_kind:     by_value
      - .offset:         120
        .size:           4
        .value_kind:     by_value
      - .offset:         128
        .size:           4
        .value_kind:     hidden_block_count_x
      - .offset:         132
        .size:           4
        .value_kind:     hidden_block_count_y
      - .offset:         136
        .size:           4
        .value_kind:     hidden_block_count_z
      - .offset:         140
        .size:           2
        .value_kind:     hidden_group_size_x
      - .offset:         142
        .size:           2
        .value_kind:     hidden_group_size_y
      - .offset:         144
        .size:           2
        .value_kind:     hidden_group_size_z
      - .offset:         146
        .size:           2
        .value_kind:     hidden_remainder_x
      - .offset:         148
        .size:           2
        .value_kind:     hidden_remainder_y
      - .offset:         150
        .size:           2
        .value_kind:     hidden_remainder_z
      - .offset:         168
        .size:           8
        .value_kind:     hidden_global_offset_x
      - .offset:         176
        .size:           8
        .value_kind:     hidden_global_offset_y
      - .offset:         184
        .size:           8
        .value_kind:     hidden_global_offset_z
      - .offset:         192
        .size:           2
        .value_kind:     hidden_grid_dims
    .group_segment_fixed_size: 32768
    .kernarg_segment_align: 8
    .kernarg_segment_size: 384
    .language:       OpenCL C
    .language_version:
      - 2
      - 0
    .max_flat_workgroup_size: 1024
    .name:           _ZL24rocblas_symm_hemm_kernelILb1ELb0ELi32EPK19rocblas_complex_numIdES3_PS1_EvbiiT2_T3_lllS6_lllT4_llli
    .private_segment_fixed_size: 0
    .sgpr_count:     52
    .sgpr_spill_count: 0
    .symbol:         _ZL24rocblas_symm_hemm_kernelILb1ELb0ELi32EPK19rocblas_complex_numIdES3_PS1_EvbiiT2_T3_lllS6_lllT4_llli.kd
    .uniform_work_group_size: 1
    .uses_dynamic_stack: false
    .vgpr_count:     46
    .vgpr_spill_count: 0
    .wavefront_size: 64
  - .agpr_count:     0
    .args:
      - .offset:         0
        .size:           1
        .value_kind:     by_value
      - .offset:         4
        .size:           4
        .value_kind:     by_value
      - .offset:         8
        .size:           4
        .value_kind:     by_value
      - .address_space:  global
        .offset:         16
        .size:           8
        .value_kind:     global_buffer
      - .address_space:  global
        .offset:         24
        .size:           8
        .value_kind:     global_buffer
      - .offset:         32
        .size:           8
        .value_kind:     by_value
      - .offset:         40
        .size:           8
        .value_kind:     by_value
      - .offset:         48
        .size:           8
        .value_kind:     by_value
      - .address_space:  global
        .offset:         56
        .size:           8
        .value_kind:     global_buffer
      - .offset:         64
        .size:           8
        .value_kind:     by_value
      - .offset:         72
        .size:           8
        .value_kind:     by_value
      - .offset:         80
        .size:           8
        .value_kind:     by_value
      - .address_space:  global
        .offset:         88
        .size:           8
        .value_kind:     global_buffer
      - .offset:         96
        .size:           8
        .value_kind:     by_value
      - .offset:         104
        .size:           8
        .value_kind:     by_value
      - .offset:         112
        .size:           8
        .value_kind:     by_value
      - .offset:         120
        .size:           4
        .value_kind:     by_value
      - .offset:         128
        .size:           4
        .value_kind:     hidden_block_count_x
      - .offset:         132
        .size:           4
        .value_kind:     hidden_block_count_y
      - .offset:         136
        .size:           4
        .value_kind:     hidden_block_count_z
      - .offset:         140
        .size:           2
        .value_kind:     hidden_group_size_x
      - .offset:         142
        .size:           2
        .value_kind:     hidden_group_size_y
      - .offset:         144
        .size:           2
        .value_kind:     hidden_group_size_z
      - .offset:         146
        .size:           2
        .value_kind:     hidden_remainder_x
      - .offset:         148
        .size:           2
        .value_kind:     hidden_remainder_y
      - .offset:         150
        .size:           2
        .value_kind:     hidden_remainder_z
      - .offset:         168
        .size:           8
        .value_kind:     hidden_global_offset_x
      - .offset:         176
        .size:           8
        .value_kind:     hidden_global_offset_y
      - .offset:         184
        .size:           8
        .value_kind:     hidden_global_offset_z
      - .offset:         192
        .size:           2
        .value_kind:     hidden_grid_dims
    .group_segment_fixed_size: 32768
    .kernarg_segment_align: 8
    .kernarg_segment_size: 384
    .language:       OpenCL C
    .language_version:
      - 2
      - 0
    .max_flat_workgroup_size: 1024
    .name:           _ZL24rocblas_symm_hemm_kernelILb1ELb1ELi32EPK19rocblas_complex_numIdES3_PS1_EvbiiT2_T3_lllS6_lllT4_llli
    .private_segment_fixed_size: 0
    .sgpr_count:     52
    .sgpr_spill_count: 0
    .symbol:         _ZL24rocblas_symm_hemm_kernelILb1ELb1ELi32EPK19rocblas_complex_numIdES3_PS1_EvbiiT2_T3_lllS6_lllT4_llli.kd
    .uniform_work_group_size: 1
    .uses_dynamic_stack: false
    .vgpr_count:     48
    .vgpr_spill_count: 0
    .wavefront_size: 64
  - .agpr_count:     0
    .args:
      - .offset:         0
        .size:           1
        .value_kind:     by_value
      - .offset:         4
        .size:           4
        .value_kind:     by_value
      - .offset:         8
        .size:           4
        .value_kind:     by_value
      - .offset:         16
        .size:           16
        .value_kind:     by_value
      - .address_space:  global
        .offset:         32
        .size:           8
        .value_kind:     global_buffer
      - .offset:         40
        .size:           8
        .value_kind:     by_value
      - .offset:         48
        .size:           8
        .value_kind:     by_value
      - .offset:         56
        .size:           8
        .value_kind:     by_value
      - .address_space:  global
        .offset:         64
        .size:           8
        .value_kind:     global_buffer
      - .offset:         72
        .size:           8
        .value_kind:     by_value
      - .offset:         80
        .size:           8
        .value_kind:     by_value
      - .offset:         88
        .size:           8
        .value_kind:     by_value
      - .address_space:  global
        .offset:         96
        .size:           8
        .value_kind:     global_buffer
      - .offset:         104
        .size:           8
        .value_kind:     by_value
      - .offset:         112
        .size:           8
        .value_kind:     by_value
      - .offset:         120
        .size:           8
        .value_kind:     by_value
      - .offset:         128
        .size:           4
        .value_kind:     by_value
      - .offset:         136
        .size:           4
        .value_kind:     hidden_block_count_x
      - .offset:         140
        .size:           4
        .value_kind:     hidden_block_count_y
      - .offset:         144
        .size:           4
        .value_kind:     hidden_block_count_z
      - .offset:         148
        .size:           2
        .value_kind:     hidden_group_size_x
      - .offset:         150
        .size:           2
        .value_kind:     hidden_group_size_y
      - .offset:         152
        .size:           2
        .value_kind:     hidden_group_size_z
      - .offset:         154
        .size:           2
        .value_kind:     hidden_remainder_x
      - .offset:         156
        .size:           2
        .value_kind:     hidden_remainder_y
      - .offset:         158
        .size:           2
        .value_kind:     hidden_remainder_z
      - .offset:         176
        .size:           8
        .value_kind:     hidden_global_offset_x
      - .offset:         184
        .size:           8
        .value_kind:     hidden_global_offset_y
      - .offset:         192
        .size:           8
        .value_kind:     hidden_global_offset_z
      - .offset:         200
        .size:           2
        .value_kind:     hidden_grid_dims
    .group_segment_fixed_size: 32768
    .kernarg_segment_align: 8
    .kernarg_segment_size: 392
    .language:       OpenCL C
    .language_version:
      - 2
      - 0
    .max_flat_workgroup_size: 1024
    .name:           _ZL24rocblas_symm_hemm_kernelILb1ELb0ELi32E19rocblas_complex_numIdEPKS1_PS1_EvbiiT2_T3_lllS6_lllT4_llli
    .private_segment_fixed_size: 0
    .sgpr_count:     48
    .sgpr_spill_count: 0
    .symbol:         _ZL24rocblas_symm_hemm_kernelILb1ELb0ELi32E19rocblas_complex_numIdEPKS1_PS1_EvbiiT2_T3_lllS6_lllT4_llli.kd
    .uniform_work_group_size: 1
    .uses_dynamic_stack: false
    .vgpr_count:     46
    .vgpr_spill_count: 0
    .wavefront_size: 64
  - .agpr_count:     0
    .args:
      - .offset:         0
        .size:           1
        .value_kind:     by_value
      - .offset:         4
        .size:           4
        .value_kind:     by_value
      - .offset:         8
        .size:           4
        .value_kind:     by_value
      - .offset:         16
        .size:           16
        .value_kind:     by_value
      - .address_space:  global
        .offset:         32
        .size:           8
        .value_kind:     global_buffer
      - .offset:         40
        .size:           8
        .value_kind:     by_value
      - .offset:         48
        .size:           8
        .value_kind:     by_value
      - .offset:         56
        .size:           8
        .value_kind:     by_value
      - .address_space:  global
        .offset:         64
        .size:           8
        .value_kind:     global_buffer
      - .offset:         72
        .size:           8
        .value_kind:     by_value
      - .offset:         80
        .size:           8
        .value_kind:     by_value
      - .offset:         88
        .size:           8
        .value_kind:     by_value
      - .address_space:  global
        .offset:         96
        .size:           8
        .value_kind:     global_buffer
      - .offset:         104
        .size:           8
        .value_kind:     by_value
      - .offset:         112
        .size:           8
        .value_kind:     by_value
      - .offset:         120
        .size:           8
        .value_kind:     by_value
      - .offset:         128
        .size:           4
        .value_kind:     by_value
      - .offset:         136
        .size:           4
        .value_kind:     hidden_block_count_x
      - .offset:         140
        .size:           4
        .value_kind:     hidden_block_count_y
      - .offset:         144
        .size:           4
        .value_kind:     hidden_block_count_z
      - .offset:         148
        .size:           2
        .value_kind:     hidden_group_size_x
      - .offset:         150
        .size:           2
        .value_kind:     hidden_group_size_y
      - .offset:         152
        .size:           2
        .value_kind:     hidden_group_size_z
      - .offset:         154
        .size:           2
        .value_kind:     hidden_remainder_x
      - .offset:         156
        .size:           2
        .value_kind:     hidden_remainder_y
      - .offset:         158
        .size:           2
        .value_kind:     hidden_remainder_z
      - .offset:         176
        .size:           8
        .value_kind:     hidden_global_offset_x
      - .offset:         184
        .size:           8
        .value_kind:     hidden_global_offset_y
      - .offset:         192
        .size:           8
        .value_kind:     hidden_global_offset_z
      - .offset:         200
        .size:           2
        .value_kind:     hidden_grid_dims
    .group_segment_fixed_size: 32768
    .kernarg_segment_align: 8
    .kernarg_segment_size: 392
    .language:       OpenCL C
    .language_version:
      - 2
      - 0
    .max_flat_workgroup_size: 1024
    .name:           _ZL24rocblas_symm_hemm_kernelILb1ELb1ELi32E19rocblas_complex_numIdEPKS1_PS1_EvbiiT2_T3_lllS6_lllT4_llli
    .private_segment_fixed_size: 0
    .sgpr_count:     48
    .sgpr_spill_count: 0
    .symbol:         _ZL24rocblas_symm_hemm_kernelILb1ELb1ELi32E19rocblas_complex_numIdEPKS1_PS1_EvbiiT2_T3_lllS6_lllT4_llli.kd
    .uniform_work_group_size: 1
    .uses_dynamic_stack: false
    .vgpr_count:     48
    .vgpr_spill_count: 0
    .wavefront_size: 64
  - .agpr_count:     0
    .args:
      - .offset:         0
        .size:           4
        .value_kind:     by_value
      - .offset:         4
        .size:           4
        .value_kind:     by_value
      - .address_space:  global
        .offset:         8
        .size:           8
        .value_kind:     global_buffer
      - .address_space:  global
        .offset:         16
        .size:           8
        .value_kind:     global_buffer
      - .offset:         24
        .size:           8
        .value_kind:     by_value
      - .offset:         32
        .size:           8
        .value_kind:     by_value
      - .offset:         40
        .size:           8
        .value_kind:     by_value
      - .offset:         48
        .size:           4
        .value_kind:     by_value
      - .offset:         56
        .size:           4
        .value_kind:     hidden_block_count_x
      - .offset:         60
        .size:           4
        .value_kind:     hidden_block_count_y
      - .offset:         64
        .size:           4
        .value_kind:     hidden_block_count_z
      - .offset:         68
        .size:           2
        .value_kind:     hidden_group_size_x
      - .offset:         70
        .size:           2
        .value_kind:     hidden_group_size_y
      - .offset:         72
        .size:           2
        .value_kind:     hidden_group_size_z
      - .offset:         74
        .size:           2
        .value_kind:     hidden_remainder_x
      - .offset:         76
        .size:           2
        .value_kind:     hidden_remainder_y
      - .offset:         78
        .size:           2
        .value_kind:     hidden_remainder_z
      - .offset:         96
        .size:           8
        .value_kind:     hidden_global_offset_x
      - .offset:         104
        .size:           8
        .value_kind:     hidden_global_offset_y
      - .offset:         112
        .size:           8
        .value_kind:     hidden_global_offset_z
      - .offset:         120
        .size:           2
        .value_kind:     hidden_grid_dims
    .group_segment_fixed_size: 0
    .kernarg_segment_align: 8
    .kernarg_segment_size: 312
    .language:       OpenCL C
    .language_version:
      - 2
      - 0
    .max_flat_workgroup_size: 1024
    .name:           _ZL25rocblas_symm_scale_kernelILi128ELi8EPKfPKPfEviiT1_T2_llli
    .private_segment_fixed_size: 0
    .sgpr_count:     24
    .sgpr_spill_count: 0
    .symbol:         _ZL25rocblas_symm_scale_kernelILi128ELi8EPKfPKPfEviiT1_T2_llli.kd
    .uniform_work_group_size: 1
    .uses_dynamic_stack: false
    .vgpr_count:     8
    .vgpr_spill_count: 0
    .wavefront_size: 64
  - .agpr_count:     0
    .args:
      - .offset:         0
        .size:           1
        .value_kind:     by_value
      - .offset:         4
        .size:           4
        .value_kind:     by_value
      - .offset:         8
        .size:           4
        .value_kind:     by_value
      - .address_space:  global
        .offset:         16
        .size:           8
        .value_kind:     global_buffer
      - .address_space:  global
        .offset:         24
        .size:           8
        .value_kind:     global_buffer
      - .offset:         32
        .size:           8
        .value_kind:     by_value
      - .offset:         40
        .size:           8
        .value_kind:     by_value
      - .offset:         48
        .size:           8
        .value_kind:     by_value
      - .address_space:  global
        .offset:         56
        .size:           8
        .value_kind:     global_buffer
      - .offset:         64
        .size:           8
        .value_kind:     by_value
      - .offset:         72
        .size:           8
        .value_kind:     by_value
      - .offset:         80
        .size:           8
        .value_kind:     by_value
      - .address_space:  global
        .offset:         88
        .size:           8
        .value_kind:     global_buffer
      - .offset:         96
        .size:           8
        .value_kind:     by_value
      - .offset:         104
        .size:           8
        .value_kind:     by_value
      - .offset:         112
        .size:           8
        .value_kind:     by_value
      - .offset:         120
        .size:           4
        .value_kind:     by_value
      - .offset:         128
        .size:           4
        .value_kind:     hidden_block_count_x
      - .offset:         132
        .size:           4
        .value_kind:     hidden_block_count_y
      - .offset:         136
        .size:           4
        .value_kind:     hidden_block_count_z
      - .offset:         140
        .size:           2
        .value_kind:     hidden_group_size_x
      - .offset:         142
        .size:           2
        .value_kind:     hidden_group_size_y
      - .offset:         144
        .size:           2
        .value_kind:     hidden_group_size_z
      - .offset:         146
        .size:           2
        .value_kind:     hidden_remainder_x
      - .offset:         148
        .size:           2
        .value_kind:     hidden_remainder_y
      - .offset:         150
        .size:           2
        .value_kind:     hidden_remainder_z
      - .offset:         168
        .size:           8
        .value_kind:     hidden_global_offset_x
      - .offset:         176
        .size:           8
        .value_kind:     hidden_global_offset_y
      - .offset:         184
        .size:           8
        .value_kind:     hidden_global_offset_z
      - .offset:         192
        .size:           2
        .value_kind:     hidden_grid_dims
    .group_segment_fixed_size: 8192
    .kernarg_segment_align: 8
    .kernarg_segment_size: 384
    .language:       OpenCL C
    .language_version:
      - 2
      - 0
    .max_flat_workgroup_size: 1024
    .name:           _ZL24rocblas_symm_hemm_kernelILb0ELb0ELi32EPKfPKS1_PKPfEvbiiT2_T3_lllS8_lllT4_llli
    .private_segment_fixed_size: 0
    .sgpr_count:     44
    .sgpr_spill_count: 0
    .symbol:         _ZL24rocblas_symm_hemm_kernelILb0ELb0ELi32EPKfPKS1_PKPfEvbiiT2_T3_lllS8_lllT4_llli.kd
    .uniform_work_group_size: 1
    .uses_dynamic_stack: false
    .vgpr_count:     40
    .vgpr_spill_count: 0
    .wavefront_size: 64
  - .agpr_count:     0
    .args:
      - .offset:         0
        .size:           1
        .value_kind:     by_value
      - .offset:         4
        .size:           4
        .value_kind:     by_value
      - .offset:         8
        .size:           4
        .value_kind:     by_value
      - .address_space:  global
        .offset:         16
        .size:           8
        .value_kind:     global_buffer
      - .address_space:  global
        .offset:         24
        .size:           8
        .value_kind:     global_buffer
      - .offset:         32
        .size:           8
        .value_kind:     by_value
      - .offset:         40
        .size:           8
        .value_kind:     by_value
      - .offset:         48
        .size:           8
        .value_kind:     by_value
      - .address_space:  global
        .offset:         56
        .size:           8
        .value_kind:     global_buffer
      - .offset:         64
        .size:           8
        .value_kind:     by_value
      - .offset:         72
        .size:           8
        .value_kind:     by_value
      - .offset:         80
        .size:           8
        .value_kind:     by_value
      - .address_space:  global
        .offset:         88
        .size:           8
        .value_kind:     global_buffer
      - .offset:         96
        .size:           8
        .value_kind:     by_value
      - .offset:         104
        .size:           8
        .value_kind:     by_value
      - .offset:         112
        .size:           8
        .value_kind:     by_value
      - .offset:         120
        .size:           4
        .value_kind:     by_value
      - .offset:         128
        .size:           4
        .value_kind:     hidden_block_count_x
      - .offset:         132
        .size:           4
        .value_kind:     hidden_block_count_y
      - .offset:         136
        .size:           4
        .value_kind:     hidden_block_count_z
      - .offset:         140
        .size:           2
        .value_kind:     hidden_group_size_x
      - .offset:         142
        .size:           2
        .value_kind:     hidden_group_size_y
      - .offset:         144
        .size:           2
        .value_kind:     hidden_group_size_z
      - .offset:         146
        .size:           2
        .value_kind:     hidden_remainder_x
      - .offset:         148
        .size:           2
        .value_kind:     hidden_remainder_y
      - .offset:         150
        .size:           2
        .value_kind:     hidden_remainder_z
      - .offset:         168
        .size:           8
        .value_kind:     hidden_global_offset_x
      - .offset:         176
        .size:           8
        .value_kind:     hidden_global_offset_y
      - .offset:         184
        .size:           8
        .value_kind:     hidden_global_offset_z
      - .offset:         192
        .size:           2
        .value_kind:     hidden_grid_dims
    .group_segment_fixed_size: 8192
    .kernarg_segment_align: 8
    .kernarg_segment_size: 384
    .language:       OpenCL C
    .language_version:
      - 2
      - 0
    .max_flat_workgroup_size: 1024
    .name:           _ZL24rocblas_symm_hemm_kernelILb0ELb1ELi32EPKfPKS1_PKPfEvbiiT2_T3_lllS8_lllT4_llli
    .private_segment_fixed_size: 0
    .sgpr_count:     36
    .sgpr_spill_count: 0
    .symbol:         _ZL24rocblas_symm_hemm_kernelILb0ELb1ELi32EPKfPKS1_PKPfEvbiiT2_T3_lllS8_lllT4_llli.kd
    .uniform_work_group_size: 1
    .uses_dynamic_stack: false
    .vgpr_count:     40
    .vgpr_spill_count: 0
    .wavefront_size: 64
  - .agpr_count:     0
    .args:
      - .offset:         0
        .size:           4
        .value_kind:     by_value
      - .offset:         4
        .size:           4
        .value_kind:     by_value
      - .offset:         8
        .size:           4
        .value_kind:     by_value
      - .address_space:  global
        .offset:         16
        .size:           8
        .value_kind:     global_buffer
      - .offset:         24
        .size:           8
        .value_kind:     by_value
      - .offset:         32
        .size:           8
        .value_kind:     by_value
      - .offset:         40
        .size:           8
        .value_kind:     by_value
      - .offset:         48
        .size:           4
        .value_kind:     by_value
      - .offset:         56
        .size:           4
        .value_kind:     hidden_block_count_x
      - .offset:         60
        .size:           4
        .value_kind:     hidden_block_count_y
      - .offset:         64
        .size:           4
        .value_kind:     hidden_block_count_z
      - .offset:         68
        .size:           2
        .value_kind:     hidden_group_size_x
      - .offset:         70
        .size:           2
        .value_kind:     hidden_group_size_y
      - .offset:         72
        .size:           2
        .value_kind:     hidden_group_size_z
      - .offset:         74
        .size:           2
        .value_kind:     hidden_remainder_x
      - .offset:         76
        .size:           2
        .value_kind:     hidden_remainder_y
      - .offset:         78
        .size:           2
        .value_kind:     hidden_remainder_z
      - .offset:         96
        .size:           8
        .value_kind:     hidden_global_offset_x
      - .offset:         104
        .size:           8
        .value_kind:     hidden_global_offset_y
      - .offset:         112
        .size:           8
        .value_kind:     hidden_global_offset_z
      - .offset:         120
        .size:           2
        .value_kind:     hidden_grid_dims
    .group_segment_fixed_size: 0
    .kernarg_segment_align: 8
    .kernarg_segment_size: 312
    .language:       OpenCL C
    .language_version:
      - 2
      - 0
    .max_flat_workgroup_size: 1024
    .name:           _ZL25rocblas_symm_scale_kernelILi128ELi8EfPKPfEviiT1_T2_llli
    .private_segment_fixed_size: 0
    .sgpr_count:     20
    .sgpr_spill_count: 0
    .symbol:         _ZL25rocblas_symm_scale_kernelILi128ELi8EfPKPfEviiT1_T2_llli.kd
    .uniform_work_group_size: 1
    .uses_dynamic_stack: false
    .vgpr_count:     8
    .vgpr_spill_count: 0
    .wavefront_size: 64
  - .agpr_count:     0
    .args:
      - .offset:         0
        .size:           1
        .value_kind:     by_value
      - .offset:         4
        .size:           4
        .value_kind:     by_value
      - .offset:         8
        .size:           4
        .value_kind:     by_value
      - .offset:         12
        .size:           4
        .value_kind:     by_value
      - .address_space:  global
        .offset:         16
        .size:           8
        .value_kind:     global_buffer
      - .offset:         24
        .size:           8
        .value_kind:     by_value
      - .offset:         32
        .size:           8
        .value_kind:     by_value
      - .offset:         40
        .size:           8
        .value_kind:     by_value
      - .address_space:  global
        .offset:         48
        .size:           8
        .value_kind:     global_buffer
      - .offset:         56
        .size:           8
        .value_kind:     by_value
      - .offset:         64
        .size:           8
        .value_kind:     by_value
      - .offset:         72
        .size:           8
        .value_kind:     by_value
      - .address_space:  global
        .offset:         80
        .size:           8
        .value_kind:     global_buffer
      - .offset:         88
        .size:           8
        .value_kind:     by_value
      - .offset:         96
        .size:           8
        .value_kind:     by_value
      - .offset:         104
        .size:           8
        .value_kind:     by_value
      - .offset:         112
        .size:           4
        .value_kind:     by_value
      - .offset:         120
        .size:           4
        .value_kind:     hidden_block_count_x
      - .offset:         124
        .size:           4
        .value_kind:     hidden_block_count_y
      - .offset:         128
        .size:           4
        .value_kind:     hidden_block_count_z
      - .offset:         132
        .size:           2
        .value_kind:     hidden_group_size_x
      - .offset:         134
        .size:           2
        .value_kind:     hidden_group_size_y
      - .offset:         136
        .size:           2
        .value_kind:     hidden_group_size_z
      - .offset:         138
        .size:           2
        .value_kind:     hidden_remainder_x
      - .offset:         140
        .size:           2
        .value_kind:     hidden_remainder_y
      - .offset:         142
        .size:           2
        .value_kind:     hidden_remainder_z
      - .offset:         160
        .size:           8
        .value_kind:     hidden_global_offset_x
      - .offset:         168
        .size:           8
        .value_kind:     hidden_global_offset_y
      - .offset:         176
        .size:           8
        .value_kind:     hidden_global_offset_z
      - .offset:         184
        .size:           2
        .value_kind:     hidden_grid_dims
    .group_segment_fixed_size: 8192
    .kernarg_segment_align: 8
    .kernarg_segment_size: 376
    .language:       OpenCL C
    .language_version:
      - 2
      - 0
    .max_flat_workgroup_size: 1024
    .name:           _ZL24rocblas_symm_hemm_kernelILb0ELb0ELi32EfPKPKfPKPfEvbiiT2_T3_lllS8_lllT4_llli
    .private_segment_fixed_size: 0
    .sgpr_count:     36
    .sgpr_spill_count: 0
    .symbol:         _ZL24rocblas_symm_hemm_kernelILb0ELb0ELi32EfPKPKfPKPfEvbiiT2_T3_lllS8_lllT4_llli.kd
    .uniform_work_group_size: 1
    .uses_dynamic_stack: false
    .vgpr_count:     40
    .vgpr_spill_count: 0
    .wavefront_size: 64
  - .agpr_count:     0
    .args:
      - .offset:         0
        .size:           1
        .value_kind:     by_value
      - .offset:         4
        .size:           4
        .value_kind:     by_value
      - .offset:         8
        .size:           4
        .value_kind:     by_value
      - .offset:         12
        .size:           4
        .value_kind:     by_value
      - .address_space:  global
        .offset:         16
        .size:           8
        .value_kind:     global_buffer
      - .offset:         24
        .size:           8
        .value_kind:     by_value
      - .offset:         32
        .size:           8
        .value_kind:     by_value
      - .offset:         40
        .size:           8
        .value_kind:     by_value
      - .address_space:  global
        .offset:         48
        .size:           8
        .value_kind:     global_buffer
      - .offset:         56
        .size:           8
        .value_kind:     by_value
      - .offset:         64
        .size:           8
        .value_kind:     by_value
      - .offset:         72
        .size:           8
        .value_kind:     by_value
      - .address_space:  global
        .offset:         80
        .size:           8
        .value_kind:     global_buffer
      - .offset:         88
        .size:           8
        .value_kind:     by_value
      - .offset:         96
        .size:           8
        .value_kind:     by_value
      - .offset:         104
        .size:           8
        .value_kind:     by_value
      - .offset:         112
        .size:           4
        .value_kind:     by_value
      - .offset:         120
        .size:           4
        .value_kind:     hidden_block_count_x
      - .offset:         124
        .size:           4
        .value_kind:     hidden_block_count_y
      - .offset:         128
        .size:           4
        .value_kind:     hidden_block_count_z
      - .offset:         132
        .size:           2
        .value_kind:     hidden_group_size_x
      - .offset:         134
        .size:           2
        .value_kind:     hidden_group_size_y
      - .offset:         136
        .size:           2
        .value_kind:     hidden_group_size_z
      - .offset:         138
        .size:           2
        .value_kind:     hidden_remainder_x
      - .offset:         140
        .size:           2
        .value_kind:     hidden_remainder_y
      - .offset:         142
        .size:           2
        .value_kind:     hidden_remainder_z
      - .offset:         160
        .size:           8
        .value_kind:     hidden_global_offset_x
      - .offset:         168
        .size:           8
        .value_kind:     hidden_global_offset_y
      - .offset:         176
        .size:           8
        .value_kind:     hidden_global_offset_z
      - .offset:         184
        .size:           2
        .value_kind:     hidden_grid_dims
    .group_segment_fixed_size: 8192
    .kernarg_segment_align: 8
    .kernarg_segment_size: 376
    .language:       OpenCL C
    .language_version:
      - 2
      - 0
    .max_flat_workgroup_size: 1024
    .name:           _ZL24rocblas_symm_hemm_kernelILb0ELb1ELi32EfPKPKfPKPfEvbiiT2_T3_lllS8_lllT4_llli
    .private_segment_fixed_size: 0
    .sgpr_count:     36
    .sgpr_spill_count: 0
    .symbol:         _ZL24rocblas_symm_hemm_kernelILb0ELb1ELi32EfPKPKfPKPfEvbiiT2_T3_lllS8_lllT4_llli.kd
    .uniform_work_group_size: 1
    .uses_dynamic_stack: false
    .vgpr_count:     40
    .vgpr_spill_count: 0
    .wavefront_size: 64
  - .agpr_count:     0
    .args:
      - .offset:         0
        .size:           4
        .value_kind:     by_value
      - .offset:         4
        .size:           4
        .value_kind:     by_value
      - .address_space:  global
        .offset:         8
        .size:           8
        .value_kind:     global_buffer
      - .address_space:  global
        .offset:         16
        .size:           8
        .value_kind:     global_buffer
      - .offset:         24
        .size:           8
        .value_kind:     by_value
      - .offset:         32
        .size:           8
        .value_kind:     by_value
      - .offset:         40
        .size:           8
        .value_kind:     by_value
      - .offset:         48
        .size:           4
        .value_kind:     by_value
      - .offset:         56
        .size:           4
        .value_kind:     hidden_block_count_x
      - .offset:         60
        .size:           4
        .value_kind:     hidden_block_count_y
      - .offset:         64
        .size:           4
        .value_kind:     hidden_block_count_z
      - .offset:         68
        .size:           2
        .value_kind:     hidden_group_size_x
      - .offset:         70
        .size:           2
        .value_kind:     hidden_group_size_y
      - .offset:         72
        .size:           2
        .value_kind:     hidden_group_size_z
      - .offset:         74
        .size:           2
        .value_kind:     hidden_remainder_x
      - .offset:         76
        .size:           2
        .value_kind:     hidden_remainder_y
      - .offset:         78
        .size:           2
        .value_kind:     hidden_remainder_z
      - .offset:         96
        .size:           8
        .value_kind:     hidden_global_offset_x
      - .offset:         104
        .size:           8
        .value_kind:     hidden_global_offset_y
      - .offset:         112
        .size:           8
        .value_kind:     hidden_global_offset_z
      - .offset:         120
        .size:           2
        .value_kind:     hidden_grid_dims
    .group_segment_fixed_size: 0
    .kernarg_segment_align: 8
    .kernarg_segment_size: 312
    .language:       OpenCL C
    .language_version:
      - 2
      - 0
    .max_flat_workgroup_size: 1024
    .name:           _ZL25rocblas_symm_scale_kernelILi128ELi8EPKdPKPdEviiT1_T2_llli
    .private_segment_fixed_size: 0
    .sgpr_count:     24
    .sgpr_spill_count: 0
    .symbol:         _ZL25rocblas_symm_scale_kernelILi128ELi8EPKdPKPdEviiT1_T2_llli.kd
    .uniform_work_group_size: 1
    .uses_dynamic_stack: false
    .vgpr_count:     8
    .vgpr_spill_count: 0
    .wavefront_size: 64
  - .agpr_count:     0
    .args:
      - .offset:         0
        .size:           1
        .value_kind:     by_value
      - .offset:         4
        .size:           4
        .value_kind:     by_value
      - .offset:         8
        .size:           4
        .value_kind:     by_value
      - .address_space:  global
        .offset:         16
        .size:           8
        .value_kind:     global_buffer
      - .address_space:  global
        .offset:         24
        .size:           8
        .value_kind:     global_buffer
      - .offset:         32
        .size:           8
        .value_kind:     by_value
      - .offset:         40
        .size:           8
        .value_kind:     by_value
      - .offset:         48
        .size:           8
        .value_kind:     by_value
      - .address_space:  global
        .offset:         56
        .size:           8
        .value_kind:     global_buffer
      - .offset:         64
        .size:           8
        .value_kind:     by_value
      - .offset:         72
        .size:           8
        .value_kind:     by_value
      - .offset:         80
        .size:           8
        .value_kind:     by_value
      - .address_space:  global
        .offset:         88
        .size:           8
        .value_kind:     global_buffer
      - .offset:         96
        .size:           8
        .value_kind:     by_value
      - .offset:         104
        .size:           8
        .value_kind:     by_value
      - .offset:         112
        .size:           8
        .value_kind:     by_value
      - .offset:         120
        .size:           4
        .value_kind:     by_value
      - .offset:         128
        .size:           4
        .value_kind:     hidden_block_count_x
      - .offset:         132
        .size:           4
        .value_kind:     hidden_block_count_y
      - .offset:         136
        .size:           4
        .value_kind:     hidden_block_count_z
      - .offset:         140
        .size:           2
        .value_kind:     hidden_group_size_x
      - .offset:         142
        .size:           2
        .value_kind:     hidden_group_size_y
      - .offset:         144
        .size:           2
        .value_kind:     hidden_group_size_z
      - .offset:         146
        .size:           2
        .value_kind:     hidden_remainder_x
      - .offset:         148
        .size:           2
        .value_kind:     hidden_remainder_y
      - .offset:         150
        .size:           2
        .value_kind:     hidden_remainder_z
      - .offset:         168
        .size:           8
        .value_kind:     hidden_global_offset_x
      - .offset:         176
        .size:           8
        .value_kind:     hidden_global_offset_y
      - .offset:         184
        .size:           8
        .value_kind:     hidden_global_offset_z
      - .offset:         192
        .size:           2
        .value_kind:     hidden_grid_dims
    .group_segment_fixed_size: 16384
    .kernarg_segment_align: 8
    .kernarg_segment_size: 384
    .language:       OpenCL C
    .language_version:
      - 2
      - 0
    .max_flat_workgroup_size: 1024
    .name:           _ZL24rocblas_symm_hemm_kernelILb0ELb0ELi32EPKdPKS1_PKPdEvbiiT2_T3_lllS8_lllT4_llli
    .private_segment_fixed_size: 0
    .sgpr_count:     44
    .sgpr_spill_count: 0
    .symbol:         _ZL24rocblas_symm_hemm_kernelILb0ELb0ELi32EPKdPKS1_PKPdEvbiiT2_T3_lllS8_lllT4_llli.kd
    .uniform_work_group_size: 1
    .uses_dynamic_stack: false
    .vgpr_count:     48
    .vgpr_spill_count: 0
    .wavefront_size: 64
  - .agpr_count:     0
    .args:
      - .offset:         0
        .size:           1
        .value_kind:     by_value
      - .offset:         4
        .size:           4
        .value_kind:     by_value
      - .offset:         8
        .size:           4
        .value_kind:     by_value
      - .address_space:  global
        .offset:         16
        .size:           8
        .value_kind:     global_buffer
      - .address_space:  global
        .offset:         24
        .size:           8
        .value_kind:     global_buffer
      - .offset:         32
        .size:           8
        .value_kind:     by_value
      - .offset:         40
        .size:           8
        .value_kind:     by_value
      - .offset:         48
        .size:           8
        .value_kind:     by_value
      - .address_space:  global
        .offset:         56
        .size:           8
        .value_kind:     global_buffer
      - .offset:         64
        .size:           8
        .value_kind:     by_value
      - .offset:         72
        .size:           8
        .value_kind:     by_value
      - .offset:         80
        .size:           8
        .value_kind:     by_value
      - .address_space:  global
        .offset:         88
        .size:           8
        .value_kind:     global_buffer
      - .offset:         96
        .size:           8
        .value_kind:     by_value
      - .offset:         104
        .size:           8
        .value_kind:     by_value
      - .offset:         112
        .size:           8
        .value_kind:     by_value
      - .offset:         120
        .size:           4
        .value_kind:     by_value
      - .offset:         128
        .size:           4
        .value_kind:     hidden_block_count_x
      - .offset:         132
        .size:           4
        .value_kind:     hidden_block_count_y
      - .offset:         136
        .size:           4
        .value_kind:     hidden_block_count_z
      - .offset:         140
        .size:           2
        .value_kind:     hidden_group_size_x
      - .offset:         142
        .size:           2
        .value_kind:     hidden_group_size_y
      - .offset:         144
        .size:           2
        .value_kind:     hidden_group_size_z
      - .offset:         146
        .size:           2
        .value_kind:     hidden_remainder_x
      - .offset:         148
        .size:           2
        .value_kind:     hidden_remainder_y
      - .offset:         150
        .size:           2
        .value_kind:     hidden_remainder_z
      - .offset:         168
        .size:           8
        .value_kind:     hidden_global_offset_x
      - .offset:         176
        .size:           8
        .value_kind:     hidden_global_offset_y
      - .offset:         184
        .size:           8
        .value_kind:     hidden_global_offset_z
      - .offset:         192
        .size:           2
        .value_kind:     hidden_grid_dims
    .group_segment_fixed_size: 16384
    .kernarg_segment_align: 8
    .kernarg_segment_size: 384
    .language:       OpenCL C
    .language_version:
      - 2
      - 0
    .max_flat_workgroup_size: 1024
    .name:           _ZL24rocblas_symm_hemm_kernelILb0ELb1ELi32EPKdPKS1_PKPdEvbiiT2_T3_lllS8_lllT4_llli
    .private_segment_fixed_size: 0
    .sgpr_count:     36
    .sgpr_spill_count: 0
    .symbol:         _ZL24rocblas_symm_hemm_kernelILb0ELb1ELi32EPKdPKS1_PKPdEvbiiT2_T3_lllS8_lllT4_llli.kd
    .uniform_work_group_size: 1
    .uses_dynamic_stack: false
    .vgpr_count:     48
    .vgpr_spill_count: 0
    .wavefront_size: 64
  - .agpr_count:     0
    .args:
      - .offset:         0
        .size:           4
        .value_kind:     by_value
      - .offset:         4
        .size:           4
        .value_kind:     by_value
      - .offset:         8
        .size:           8
        .value_kind:     by_value
      - .address_space:  global
        .offset:         16
        .size:           8
        .value_kind:     global_buffer
      - .offset:         24
        .size:           8
        .value_kind:     by_value
      - .offset:         32
        .size:           8
        .value_kind:     by_value
      - .offset:         40
        .size:           8
        .value_kind:     by_value
      - .offset:         48
        .size:           4
        .value_kind:     by_value
      - .offset:         56
        .size:           4
        .value_kind:     hidden_block_count_x
      - .offset:         60
        .size:           4
        .value_kind:     hidden_block_count_y
      - .offset:         64
        .size:           4
        .value_kind:     hidden_block_count_z
      - .offset:         68
        .size:           2
        .value_kind:     hidden_group_size_x
      - .offset:         70
        .size:           2
        .value_kind:     hidden_group_size_y
      - .offset:         72
        .size:           2
        .value_kind:     hidden_group_size_z
      - .offset:         74
        .size:           2
        .value_kind:     hidden_remainder_x
      - .offset:         76
        .size:           2
        .value_kind:     hidden_remainder_y
      - .offset:         78
        .size:           2
        .value_kind:     hidden_remainder_z
      - .offset:         96
        .size:           8
        .value_kind:     hidden_global_offset_x
      - .offset:         104
        .size:           8
        .value_kind:     hidden_global_offset_y
      - .offset:         112
        .size:           8
        .value_kind:     hidden_global_offset_z
      - .offset:         120
        .size:           2
        .value_kind:     hidden_grid_dims
    .group_segment_fixed_size: 0
    .kernarg_segment_align: 8
    .kernarg_segment_size: 312
    .language:       OpenCL C
    .language_version:
      - 2
      - 0
    .max_flat_workgroup_size: 1024
    .name:           _ZL25rocblas_symm_scale_kernelILi128ELi8EdPKPdEviiT1_T2_llli
    .private_segment_fixed_size: 0
    .sgpr_count:     24
    .sgpr_spill_count: 0
    .symbol:         _ZL25rocblas_symm_scale_kernelILi128ELi8EdPKPdEviiT1_T2_llli.kd
    .uniform_work_group_size: 1
    .uses_dynamic_stack: false
    .vgpr_count:     8
    .vgpr_spill_count: 0
    .wavefront_size: 64
  - .agpr_count:     0
    .args:
      - .offset:         0
        .size:           1
        .value_kind:     by_value
      - .offset:         4
        .size:           4
        .value_kind:     by_value
      - .offset:         8
        .size:           4
        .value_kind:     by_value
      - .offset:         16
        .size:           8
        .value_kind:     by_value
      - .address_space:  global
        .offset:         24
        .size:           8
        .value_kind:     global_buffer
      - .offset:         32
        .size:           8
        .value_kind:     by_value
      - .offset:         40
        .size:           8
        .value_kind:     by_value
      - .offset:         48
        .size:           8
        .value_kind:     by_value
      - .address_space:  global
        .offset:         56
        .size:           8
        .value_kind:     global_buffer
      - .offset:         64
        .size:           8
        .value_kind:     by_value
      - .offset:         72
        .size:           8
        .value_kind:     by_value
      - .offset:         80
        .size:           8
        .value_kind:     by_value
      - .address_space:  global
        .offset:         88
        .size:           8
        .value_kind:     global_buffer
      - .offset:         96
        .size:           8
        .value_kind:     by_value
      - .offset:         104
        .size:           8
        .value_kind:     by_value
      - .offset:         112
        .size:           8
        .value_kind:     by_value
      - .offset:         120
        .size:           4
        .value_kind:     by_value
      - .offset:         128
        .size:           4
        .value_kind:     hidden_block_count_x
      - .offset:         132
        .size:           4
        .value_kind:     hidden_block_count_y
      - .offset:         136
        .size:           4
        .value_kind:     hidden_block_count_z
      - .offset:         140
        .size:           2
        .value_kind:     hidden_group_size_x
      - .offset:         142
        .size:           2
        .value_kind:     hidden_group_size_y
      - .offset:         144
        .size:           2
        .value_kind:     hidden_group_size_z
      - .offset:         146
        .size:           2
        .value_kind:     hidden_remainder_x
      - .offset:         148
        .size:           2
        .value_kind:     hidden_remainder_y
      - .offset:         150
        .size:           2
        .value_kind:     hidden_remainder_z
      - .offset:         168
        .size:           8
        .value_kind:     hidden_global_offset_x
      - .offset:         176
        .size:           8
        .value_kind:     hidden_global_offset_y
      - .offset:         184
        .size:           8
        .value_kind:     hidden_global_offset_z
      - .offset:         192
        .size:           2
        .value_kind:     hidden_grid_dims
    .group_segment_fixed_size: 16384
    .kernarg_segment_align: 8
    .kernarg_segment_size: 384
    .language:       OpenCL C
    .language_version:
      - 2
      - 0
    .max_flat_workgroup_size: 1024
    .name:           _ZL24rocblas_symm_hemm_kernelILb0ELb0ELi32EdPKPKdPKPdEvbiiT2_T3_lllS8_lllT4_llli
    .private_segment_fixed_size: 0
    .sgpr_count:     44
    .sgpr_spill_count: 0
    .symbol:         _ZL24rocblas_symm_hemm_kernelILb0ELb0ELi32EdPKPKdPKPdEvbiiT2_T3_lllS8_lllT4_llli.kd
    .uniform_work_group_size: 1
    .uses_dynamic_stack: false
    .vgpr_count:     48
    .vgpr_spill_count: 0
    .wavefront_size: 64
  - .agpr_count:     0
    .args:
      - .offset:         0
        .size:           1
        .value_kind:     by_value
      - .offset:         4
        .size:           4
        .value_kind:     by_value
      - .offset:         8
        .size:           4
        .value_kind:     by_value
      - .offset:         16
        .size:           8
        .value_kind:     by_value
      - .address_space:  global
        .offset:         24
        .size:           8
        .value_kind:     global_buffer
      - .offset:         32
        .size:           8
        .value_kind:     by_value
      - .offset:         40
        .size:           8
        .value_kind:     by_value
      - .offset:         48
        .size:           8
        .value_kind:     by_value
      - .address_space:  global
        .offset:         56
        .size:           8
        .value_kind:     global_buffer
      - .offset:         64
        .size:           8
        .value_kind:     by_value
      - .offset:         72
        .size:           8
        .value_kind:     by_value
      - .offset:         80
        .size:           8
        .value_kind:     by_value
      - .address_space:  global
        .offset:         88
        .size:           8
        .value_kind:     global_buffer
      - .offset:         96
        .size:           8
        .value_kind:     by_value
      - .offset:         104
        .size:           8
        .value_kind:     by_value
      - .offset:         112
        .size:           8
        .value_kind:     by_value
      - .offset:         120
        .size:           4
        .value_kind:     by_value
      - .offset:         128
        .size:           4
        .value_kind:     hidden_block_count_x
      - .offset:         132
        .size:           4
        .value_kind:     hidden_block_count_y
      - .offset:         136
        .size:           4
        .value_kind:     hidden_block_count_z
      - .offset:         140
        .size:           2
        .value_kind:     hidden_group_size_x
      - .offset:         142
        .size:           2
        .value_kind:     hidden_group_size_y
      - .offset:         144
        .size:           2
        .value_kind:     hidden_group_size_z
      - .offset:         146
        .size:           2
        .value_kind:     hidden_remainder_x
      - .offset:         148
        .size:           2
        .value_kind:     hidden_remainder_y
      - .offset:         150
        .size:           2
        .value_kind:     hidden_remainder_z
      - .offset:         168
        .size:           8
        .value_kind:     hidden_global_offset_x
      - .offset:         176
        .size:           8
        .value_kind:     hidden_global_offset_y
      - .offset:         184
        .size:           8
        .value_kind:     hidden_global_offset_z
      - .offset:         192
        .size:           2
        .value_kind:     hidden_grid_dims
    .group_segment_fixed_size: 16384
    .kernarg_segment_align: 8
    .kernarg_segment_size: 384
    .language:       OpenCL C
    .language_version:
      - 2
      - 0
    .max_flat_workgroup_size: 1024
    .name:           _ZL24rocblas_symm_hemm_kernelILb0ELb1ELi32EdPKPKdPKPdEvbiiT2_T3_lllS8_lllT4_llli
    .private_segment_fixed_size: 0
    .sgpr_count:     36
    .sgpr_spill_count: 0
    .symbol:         _ZL24rocblas_symm_hemm_kernelILb0ELb1ELi32EdPKPKdPKPdEvbiiT2_T3_lllS8_lllT4_llli.kd
    .uniform_work_group_size: 1
    .uses_dynamic_stack: false
    .vgpr_count:     48
    .vgpr_spill_count: 0
    .wavefront_size: 64
  - .agpr_count:     0
    .args:
      - .offset:         0
        .size:           4
        .value_kind:     by_value
      - .offset:         4
        .size:           4
        .value_kind:     by_value
      - .address_space:  global
        .offset:         8
        .size:           8
        .value_kind:     global_buffer
      - .address_space:  global
        .offset:         16
        .size:           8
        .value_kind:     global_buffer
      - .offset:         24
        .size:           8
        .value_kind:     by_value
      - .offset:         32
        .size:           8
        .value_kind:     by_value
      - .offset:         40
        .size:           8
        .value_kind:     by_value
      - .offset:         48
        .size:           4
        .value_kind:     by_value
      - .offset:         56
        .size:           4
        .value_kind:     hidden_block_count_x
      - .offset:         60
        .size:           4
        .value_kind:     hidden_block_count_y
      - .offset:         64
        .size:           4
        .value_kind:     hidden_block_count_z
      - .offset:         68
        .size:           2
        .value_kind:     hidden_group_size_x
      - .offset:         70
        .size:           2
        .value_kind:     hidden_group_size_y
      - .offset:         72
        .size:           2
        .value_kind:     hidden_group_size_z
      - .offset:         74
        .size:           2
        .value_kind:     hidden_remainder_x
      - .offset:         76
        .size:           2
        .value_kind:     hidden_remainder_y
      - .offset:         78
        .size:           2
        .value_kind:     hidden_remainder_z
      - .offset:         96
        .size:           8
        .value_kind:     hidden_global_offset_x
      - .offset:         104
        .size:           8
        .value_kind:     hidden_global_offset_y
      - .offset:         112
        .size:           8
        .value_kind:     hidden_global_offset_z
      - .offset:         120
        .size:           2
        .value_kind:     hidden_grid_dims
    .group_segment_fixed_size: 0
    .kernarg_segment_align: 8
    .kernarg_segment_size: 312
    .language:       OpenCL C
    .language_version:
      - 2
      - 0
    .max_flat_workgroup_size: 1024
    .name:           _ZL25rocblas_symm_scale_kernelILi128ELi8EPK19rocblas_complex_numIfEPKPS1_EviiT1_T2_llli
    .private_segment_fixed_size: 0
    .sgpr_count:     24
    .sgpr_spill_count: 0
    .symbol:         _ZL25rocblas_symm_scale_kernelILi128ELi8EPK19rocblas_complex_numIfEPKPS1_EviiT1_T2_llli.kd
    .uniform_work_group_size: 1
    .uses_dynamic_stack: false
    .vgpr_count:     11
    .vgpr_spill_count: 0
    .wavefront_size: 64
  - .agpr_count:     0
    .args:
      - .offset:         0
        .size:           1
        .value_kind:     by_value
      - .offset:         4
        .size:           4
        .value_kind:     by_value
      - .offset:         8
        .size:           4
        .value_kind:     by_value
      - .address_space:  global
        .offset:         16
        .size:           8
        .value_kind:     global_buffer
      - .address_space:  global
        .offset:         24
        .size:           8
        .value_kind:     global_buffer
      - .offset:         32
        .size:           8
        .value_kind:     by_value
      - .offset:         40
        .size:           8
        .value_kind:     by_value
      - .offset:         48
        .size:           8
        .value_kind:     by_value
      - .address_space:  global
        .offset:         56
        .size:           8
        .value_kind:     global_buffer
      - .offset:         64
        .size:           8
        .value_kind:     by_value
      - .offset:         72
        .size:           8
        .value_kind:     by_value
      - .offset:         80
        .size:           8
        .value_kind:     by_value
      - .address_space:  global
        .offset:         88
        .size:           8
        .value_kind:     global_buffer
      - .offset:         96
        .size:           8
        .value_kind:     by_value
      - .offset:         104
        .size:           8
        .value_kind:     by_value
      - .offset:         112
        .size:           8
        .value_kind:     by_value
      - .offset:         120
        .size:           4
        .value_kind:     by_value
      - .offset:         128
        .size:           4
        .value_kind:     hidden_block_count_x
      - .offset:         132
        .size:           4
        .value_kind:     hidden_block_count_y
      - .offset:         136
        .size:           4
        .value_kind:     hidden_block_count_z
      - .offset:         140
        .size:           2
        .value_kind:     hidden_group_size_x
      - .offset:         142
        .size:           2
        .value_kind:     hidden_group_size_y
      - .offset:         144
        .size:           2
        .value_kind:     hidden_group_size_z
      - .offset:         146
        .size:           2
        .value_kind:     hidden_remainder_x
      - .offset:         148
        .size:           2
        .value_kind:     hidden_remainder_y
      - .offset:         150
        .size:           2
        .value_kind:     hidden_remainder_z
      - .offset:         168
        .size:           8
        .value_kind:     hidden_global_offset_x
      - .offset:         176
        .size:           8
        .value_kind:     hidden_global_offset_y
      - .offset:         184
        .size:           8
        .value_kind:     hidden_global_offset_z
      - .offset:         192
        .size:           2
        .value_kind:     hidden_grid_dims
    .group_segment_fixed_size: 16384
    .kernarg_segment_align: 8
    .kernarg_segment_size: 384
    .language:       OpenCL C
    .language_version:
      - 2
      - 0
    .max_flat_workgroup_size: 1024
    .name:           _ZL24rocblas_symm_hemm_kernelILb0ELb0ELi32EPK19rocblas_complex_numIfEPKS3_PKPS1_EvbiiT2_T3_lllSA_lllT4_llli
    .private_segment_fixed_size: 0
    .sgpr_count:     44
    .sgpr_spill_count: 0
    .symbol:         _ZL24rocblas_symm_hemm_kernelILb0ELb0ELi32EPK19rocblas_complex_numIfEPKS3_PKPS1_EvbiiT2_T3_lllSA_lllT4_llli.kd
    .uniform_work_group_size: 1
    .uses_dynamic_stack: false
    .vgpr_count:     40
    .vgpr_spill_count: 0
    .wavefront_size: 64
  - .agpr_count:     0
    .args:
      - .offset:         0
        .size:           1
        .value_kind:     by_value
      - .offset:         4
        .size:           4
        .value_kind:     by_value
      - .offset:         8
        .size:           4
        .value_kind:     by_value
      - .address_space:  global
        .offset:         16
        .size:           8
        .value_kind:     global_buffer
      - .address_space:  global
        .offset:         24
        .size:           8
        .value_kind:     global_buffer
      - .offset:         32
        .size:           8
        .value_kind:     by_value
      - .offset:         40
        .size:           8
        .value_kind:     by_value
      - .offset:         48
        .size:           8
        .value_kind:     by_value
      - .address_space:  global
        .offset:         56
        .size:           8
        .value_kind:     global_buffer
      - .offset:         64
        .size:           8
        .value_kind:     by_value
      - .offset:         72
        .size:           8
        .value_kind:     by_value
      - .offset:         80
        .size:           8
        .value_kind:     by_value
      - .address_space:  global
        .offset:         88
        .size:           8
        .value_kind:     global_buffer
      - .offset:         96
        .size:           8
        .value_kind:     by_value
      - .offset:         104
        .size:           8
        .value_kind:     by_value
      - .offset:         112
        .size:           8
        .value_kind:     by_value
      - .offset:         120
        .size:           4
        .value_kind:     by_value
      - .offset:         128
        .size:           4
        .value_kind:     hidden_block_count_x
      - .offset:         132
        .size:           4
        .value_kind:     hidden_block_count_y
      - .offset:         136
        .size:           4
        .value_kind:     hidden_block_count_z
      - .offset:         140
        .size:           2
        .value_kind:     hidden_group_size_x
      - .offset:         142
        .size:           2
        .value_kind:     hidden_group_size_y
      - .offset:         144
        .size:           2
        .value_kind:     hidden_group_size_z
      - .offset:         146
        .size:           2
        .value_kind:     hidden_remainder_x
      - .offset:         148
        .size:           2
        .value_kind:     hidden_remainder_y
      - .offset:         150
        .size:           2
        .value_kind:     hidden_remainder_z
      - .offset:         168
        .size:           8
        .value_kind:     hidden_global_offset_x
      - .offset:         176
        .size:           8
        .value_kind:     hidden_global_offset_y
      - .offset:         184
        .size:           8
        .value_kind:     hidden_global_offset_z
      - .offset:         192
        .size:           2
        .value_kind:     hidden_grid_dims
    .group_segment_fixed_size: 16384
    .kernarg_segment_align: 8
    .kernarg_segment_size: 384
    .language:       OpenCL C
    .language_version:
      - 2
      - 0
    .max_flat_workgroup_size: 1024
    .name:           _ZL24rocblas_symm_hemm_kernelILb0ELb1ELi32EPK19rocblas_complex_numIfEPKS3_PKPS1_EvbiiT2_T3_lllSA_lllT4_llli
    .private_segment_fixed_size: 0
    .sgpr_count:     36
    .sgpr_spill_count: 0
    .symbol:         _ZL24rocblas_symm_hemm_kernelILb0ELb1ELi32EPK19rocblas_complex_numIfEPKS3_PKPS1_EvbiiT2_T3_lllSA_lllT4_llli.kd
    .uniform_work_group_size: 1
    .uses_dynamic_stack: false
    .vgpr_count:     40
    .vgpr_spill_count: 0
    .wavefront_size: 64
  - .agpr_count:     0
    .args:
      - .offset:         0
        .size:           4
        .value_kind:     by_value
      - .offset:         4
        .size:           4
        .value_kind:     by_value
      - .offset:         8
        .size:           8
        .value_kind:     by_value
      - .address_space:  global
        .offset:         16
        .size:           8
        .value_kind:     global_buffer
      - .offset:         24
        .size:           8
        .value_kind:     by_value
      - .offset:         32
        .size:           8
        .value_kind:     by_value
      - .offset:         40
        .size:           8
        .value_kind:     by_value
      - .offset:         48
        .size:           4
        .value_kind:     by_value
      - .offset:         56
        .size:           4
        .value_kind:     hidden_block_count_x
      - .offset:         60
        .size:           4
        .value_kind:     hidden_block_count_y
      - .offset:         64
        .size:           4
        .value_kind:     hidden_block_count_z
      - .offset:         68
        .size:           2
        .value_kind:     hidden_group_size_x
      - .offset:         70
        .size:           2
        .value_kind:     hidden_group_size_y
      - .offset:         72
        .size:           2
        .value_kind:     hidden_group_size_z
      - .offset:         74
        .size:           2
        .value_kind:     hidden_remainder_x
      - .offset:         76
        .size:           2
        .value_kind:     hidden_remainder_y
      - .offset:         78
        .size:           2
        .value_kind:     hidden_remainder_z
      - .offset:         96
        .size:           8
        .value_kind:     hidden_global_offset_x
      - .offset:         104
        .size:           8
        .value_kind:     hidden_global_offset_y
      - .offset:         112
        .size:           8
        .value_kind:     hidden_global_offset_z
      - .offset:         120
        .size:           2
        .value_kind:     hidden_grid_dims
    .group_segment_fixed_size: 0
    .kernarg_segment_align: 8
    .kernarg_segment_size: 312
    .language:       OpenCL C
    .language_version:
      - 2
      - 0
    .max_flat_workgroup_size: 1024
    .name:           _ZL25rocblas_symm_scale_kernelILi128ELi8E19rocblas_complex_numIfEPKPS1_EviiT1_T2_llli
    .private_segment_fixed_size: 0
    .sgpr_count:     22
    .sgpr_spill_count: 0
    .symbol:         _ZL25rocblas_symm_scale_kernelILi128ELi8E19rocblas_complex_numIfEPKPS1_EviiT1_T2_llli.kd
    .uniform_work_group_size: 1
    .uses_dynamic_stack: false
    .vgpr_count:     11
    .vgpr_spill_count: 0
    .wavefront_size: 64
  - .agpr_count:     0
    .args:
      - .offset:         0
        .size:           1
        .value_kind:     by_value
      - .offset:         4
        .size:           4
        .value_kind:     by_value
      - .offset:         8
        .size:           4
        .value_kind:     by_value
      - .offset:         12
        .size:           8
        .value_kind:     by_value
      - .address_space:  global
        .offset:         24
        .size:           8
        .value_kind:     global_buffer
      - .offset:         32
        .size:           8
        .value_kind:     by_value
      - .offset:         40
        .size:           8
        .value_kind:     by_value
      - .offset:         48
        .size:           8
        .value_kind:     by_value
      - .address_space:  global
        .offset:         56
        .size:           8
        .value_kind:     global_buffer
      - .offset:         64
        .size:           8
        .value_kind:     by_value
      - .offset:         72
        .size:           8
        .value_kind:     by_value
      - .offset:         80
        .size:           8
        .value_kind:     by_value
      - .address_space:  global
        .offset:         88
        .size:           8
        .value_kind:     global_buffer
      - .offset:         96
        .size:           8
        .value_kind:     by_value
      - .offset:         104
        .size:           8
        .value_kind:     by_value
      - .offset:         112
        .size:           8
        .value_kind:     by_value
      - .offset:         120
        .size:           4
        .value_kind:     by_value
      - .offset:         128
        .size:           4
        .value_kind:     hidden_block_count_x
      - .offset:         132
        .size:           4
        .value_kind:     hidden_block_count_y
      - .offset:         136
        .size:           4
        .value_kind:     hidden_block_count_z
      - .offset:         140
        .size:           2
        .value_kind:     hidden_group_size_x
      - .offset:         142
        .size:           2
        .value_kind:     hidden_group_size_y
      - .offset:         144
        .size:           2
        .value_kind:     hidden_group_size_z
      - .offset:         146
        .size:           2
        .value_kind:     hidden_remainder_x
      - .offset:         148
        .size:           2
        .value_kind:     hidden_remainder_y
      - .offset:         150
        .size:           2
        .value_kind:     hidden_remainder_z
      - .offset:         168
        .size:           8
        .value_kind:     hidden_global_offset_x
      - .offset:         176
        .size:           8
        .value_kind:     hidden_global_offset_y
      - .offset:         184
        .size:           8
        .value_kind:     hidden_global_offset_z
      - .offset:         192
        .size:           2
        .value_kind:     hidden_grid_dims
    .group_segment_fixed_size: 16384
    .kernarg_segment_align: 8
    .kernarg_segment_size: 384
    .language:       OpenCL C
    .language_version:
      - 2
      - 0
    .max_flat_workgroup_size: 1024
    .name:           _ZL24rocblas_symm_hemm_kernelILb0ELb0ELi32E19rocblas_complex_numIfEPKPKS1_PKPS1_EvbiiT2_T3_lllSA_lllT4_llli
    .private_segment_fixed_size: 0
    .sgpr_count:     34
    .sgpr_spill_count: 0
    .symbol:         _ZL24rocblas_symm_hemm_kernelILb0ELb0ELi32E19rocblas_complex_numIfEPKPKS1_PKPS1_EvbiiT2_T3_lllSA_lllT4_llli.kd
    .uniform_work_group_size: 1
    .uses_dynamic_stack: false
    .vgpr_count:     40
    .vgpr_spill_count: 0
    .wavefront_size: 64
  - .agpr_count:     0
    .args:
      - .offset:         0
        .size:           1
        .value_kind:     by_value
      - .offset:         4
        .size:           4
        .value_kind:     by_value
      - .offset:         8
        .size:           4
        .value_kind:     by_value
      - .offset:         12
        .size:           8
        .value_kind:     by_value
      - .address_space:  global
        .offset:         24
        .size:           8
        .value_kind:     global_buffer
      - .offset:         32
        .size:           8
        .value_kind:     by_value
      - .offset:         40
        .size:           8
        .value_kind:     by_value
      - .offset:         48
        .size:           8
        .value_kind:     by_value
      - .address_space:  global
        .offset:         56
        .size:           8
        .value_kind:     global_buffer
      - .offset:         64
        .size:           8
        .value_kind:     by_value
      - .offset:         72
        .size:           8
        .value_kind:     by_value
      - .offset:         80
        .size:           8
        .value_kind:     by_value
      - .address_space:  global
        .offset:         88
        .size:           8
        .value_kind:     global_buffer
      - .offset:         96
        .size:           8
        .value_kind:     by_value
      - .offset:         104
        .size:           8
        .value_kind:     by_value
      - .offset:         112
        .size:           8
        .value_kind:     by_value
      - .offset:         120
        .size:           4
        .value_kind:     by_value
      - .offset:         128
        .size:           4
        .value_kind:     hidden_block_count_x
      - .offset:         132
        .size:           4
        .value_kind:     hidden_block_count_y
      - .offset:         136
        .size:           4
        .value_kind:     hidden_block_count_z
      - .offset:         140
        .size:           2
        .value_kind:     hidden_group_size_x
      - .offset:         142
        .size:           2
        .value_kind:     hidden_group_size_y
      - .offset:         144
        .size:           2
        .value_kind:     hidden_group_size_z
      - .offset:         146
        .size:           2
        .value_kind:     hidden_remainder_x
      - .offset:         148
        .size:           2
        .value_kind:     hidden_remainder_y
      - .offset:         150
        .size:           2
        .value_kind:     hidden_remainder_z
      - .offset:         168
        .size:           8
        .value_kind:     hidden_global_offset_x
      - .offset:         176
        .size:           8
        .value_kind:     hidden_global_offset_y
      - .offset:         184
        .size:           8
        .value_kind:     hidden_global_offset_z
      - .offset:         192
        .size:           2
        .value_kind:     hidden_grid_dims
    .group_segment_fixed_size: 16384
    .kernarg_segment_align: 8
    .kernarg_segment_size: 384
    .language:       OpenCL C
    .language_version:
      - 2
      - 0
    .max_flat_workgroup_size: 1024
    .name:           _ZL24rocblas_symm_hemm_kernelILb0ELb1ELi32E19rocblas_complex_numIfEPKPKS1_PKPS1_EvbiiT2_T3_lllSA_lllT4_llli
    .private_segment_fixed_size: 0
    .sgpr_count:     40
    .sgpr_spill_count: 0
    .symbol:         _ZL24rocblas_symm_hemm_kernelILb0ELb1ELi32E19rocblas_complex_numIfEPKPKS1_PKPS1_EvbiiT2_T3_lllSA_lllT4_llli.kd
    .uniform_work_group_size: 1
    .uses_dynamic_stack: false
    .vgpr_count:     40
    .vgpr_spill_count: 0
    .wavefront_size: 64
  - .agpr_count:     0
    .args:
      - .offset:         0
        .size:           4
        .value_kind:     by_value
      - .offset:         4
        .size:           4
        .value_kind:     by_value
      - .address_space:  global
        .offset:         8
        .size:           8
        .value_kind:     global_buffer
      - .address_space:  global
        .offset:         16
        .size:           8
        .value_kind:     global_buffer
      - .offset:         24
        .size:           8
        .value_kind:     by_value
      - .offset:         32
        .size:           8
        .value_kind:     by_value
      - .offset:         40
        .size:           8
        .value_kind:     by_value
      - .offset:         48
        .size:           4
        .value_kind:     by_value
      - .offset:         56
        .size:           4
        .value_kind:     hidden_block_count_x
      - .offset:         60
        .size:           4
        .value_kind:     hidden_block_count_y
      - .offset:         64
        .size:           4
        .value_kind:     hidden_block_count_z
      - .offset:         68
        .size:           2
        .value_kind:     hidden_group_size_x
      - .offset:         70
        .size:           2
        .value_kind:     hidden_group_size_y
      - .offset:         72
        .size:           2
        .value_kind:     hidden_group_size_z
      - .offset:         74
        .size:           2
        .value_kind:     hidden_remainder_x
      - .offset:         76
        .size:           2
        .value_kind:     hidden_remainder_y
      - .offset:         78
        .size:           2
        .value_kind:     hidden_remainder_z
      - .offset:         96
        .size:           8
        .value_kind:     hidden_global_offset_x
      - .offset:         104
        .size:           8
        .value_kind:     hidden_global_offset_y
      - .offset:         112
        .size:           8
        .value_kind:     hidden_global_offset_z
      - .offset:         120
        .size:           2
        .value_kind:     hidden_grid_dims
    .group_segment_fixed_size: 0
    .kernarg_segment_align: 8
    .kernarg_segment_size: 312
    .language:       OpenCL C
    .language_version:
      - 2
      - 0
    .max_flat_workgroup_size: 1024
    .name:           _ZL25rocblas_symm_scale_kernelILi128ELi8EPK19rocblas_complex_numIdEPKPS1_EviiT1_T2_llli
    .private_segment_fixed_size: 0
    .sgpr_count:     28
    .sgpr_spill_count: 0
    .symbol:         _ZL25rocblas_symm_scale_kernelILi128ELi8EPK19rocblas_complex_numIdEPKPS1_EviiT1_T2_llli.kd
    .uniform_work_group_size: 1
    .uses_dynamic_stack: false
    .vgpr_count:     14
    .vgpr_spill_count: 0
    .wavefront_size: 64
  - .agpr_count:     0
    .args:
      - .offset:         0
        .size:           1
        .value_kind:     by_value
      - .offset:         4
        .size:           4
        .value_kind:     by_value
      - .offset:         8
        .size:           4
        .value_kind:     by_value
      - .address_space:  global
        .offset:         16
        .size:           8
        .value_kind:     global_buffer
      - .address_space:  global
        .offset:         24
        .size:           8
        .value_kind:     global_buffer
      - .offset:         32
        .size:           8
        .value_kind:     by_value
      - .offset:         40
        .size:           8
        .value_kind:     by_value
      - .offset:         48
        .size:           8
        .value_kind:     by_value
      - .address_space:  global
        .offset:         56
        .size:           8
        .value_kind:     global_buffer
      - .offset:         64
        .size:           8
        .value_kind:     by_value
      - .offset:         72
        .size:           8
        .value_kind:     by_value
      - .offset:         80
        .size:           8
        .value_kind:     by_value
      - .address_space:  global
        .offset:         88
        .size:           8
        .value_kind:     global_buffer
      - .offset:         96
        .size:           8
        .value_kind:     by_value
      - .offset:         104
        .size:           8
        .value_kind:     by_value
      - .offset:         112
        .size:           8
        .value_kind:     by_value
      - .offset:         120
        .size:           4
        .value_kind:     by_value
      - .offset:         128
        .size:           4
        .value_kind:     hidden_block_count_x
      - .offset:         132
        .size:           4
        .value_kind:     hidden_block_count_y
      - .offset:         136
        .size:           4
        .value_kind:     hidden_block_count_z
      - .offset:         140
        .size:           2
        .value_kind:     hidden_group_size_x
      - .offset:         142
        .size:           2
        .value_kind:     hidden_group_size_y
      - .offset:         144
        .size:           2
        .value_kind:     hidden_group_size_z
      - .offset:         146
        .size:           2
        .value_kind:     hidden_remainder_x
      - .offset:         148
        .size:           2
        .value_kind:     hidden_remainder_y
      - .offset:         150
        .size:           2
        .value_kind:     hidden_remainder_z
      - .offset:         168
        .size:           8
        .value_kind:     hidden_global_offset_x
      - .offset:         176
        .size:           8
        .value_kind:     hidden_global_offset_y
      - .offset:         184
        .size:           8
        .value_kind:     hidden_global_offset_z
      - .offset:         192
        .size:           2
        .value_kind:     hidden_grid_dims
    .group_segment_fixed_size: 32768
    .kernarg_segment_align: 8
    .kernarg_segment_size: 384
    .language:       OpenCL C
    .language_version:
      - 2
      - 0
    .max_flat_workgroup_size: 1024
    .name:           _ZL24rocblas_symm_hemm_kernelILb0ELb0ELi32EPK19rocblas_complex_numIdEPKS3_PKPS1_EvbiiT2_T3_lllSA_lllT4_llli
    .private_segment_fixed_size: 0
    .sgpr_count:     44
    .sgpr_spill_count: 0
    .symbol:         _ZL24rocblas_symm_hemm_kernelILb0ELb0ELi32EPK19rocblas_complex_numIdEPKS3_PKPS1_EvbiiT2_T3_lllSA_lllT4_llli.kd
    .uniform_work_group_size: 1
    .uses_dynamic_stack: false
    .vgpr_count:     40
    .vgpr_spill_count: 0
    .wavefront_size: 64
  - .agpr_count:     0
    .args:
      - .offset:         0
        .size:           1
        .value_kind:     by_value
      - .offset:         4
        .size:           4
        .value_kind:     by_value
      - .offset:         8
        .size:           4
        .value_kind:     by_value
      - .address_space:  global
        .offset:         16
        .size:           8
        .value_kind:     global_buffer
      - .address_space:  global
        .offset:         24
        .size:           8
        .value_kind:     global_buffer
      - .offset:         32
        .size:           8
        .value_kind:     by_value
      - .offset:         40
        .size:           8
        .value_kind:     by_value
      - .offset:         48
        .size:           8
        .value_kind:     by_value
      - .address_space:  global
        .offset:         56
        .size:           8
        .value_kind:     global_buffer
      - .offset:         64
        .size:           8
        .value_kind:     by_value
      - .offset:         72
        .size:           8
        .value_kind:     by_value
      - .offset:         80
        .size:           8
        .value_kind:     by_value
      - .address_space:  global
        .offset:         88
        .size:           8
        .value_kind:     global_buffer
      - .offset:         96
        .size:           8
        .value_kind:     by_value
      - .offset:         104
        .size:           8
        .value_kind:     by_value
      - .offset:         112
        .size:           8
        .value_kind:     by_value
      - .offset:         120
        .size:           4
        .value_kind:     by_value
      - .offset:         128
        .size:           4
        .value_kind:     hidden_block_count_x
      - .offset:         132
        .size:           4
        .value_kind:     hidden_block_count_y
      - .offset:         136
        .size:           4
        .value_kind:     hidden_block_count_z
      - .offset:         140
        .size:           2
        .value_kind:     hidden_group_size_x
      - .offset:         142
        .size:           2
        .value_kind:     hidden_group_size_y
      - .offset:         144
        .size:           2
        .value_kind:     hidden_group_size_z
      - .offset:         146
        .size:           2
        .value_kind:     hidden_remainder_x
      - .offset:         148
        .size:           2
        .value_kind:     hidden_remainder_y
      - .offset:         150
        .size:           2
        .value_kind:     hidden_remainder_z
      - .offset:         168
        .size:           8
        .value_kind:     hidden_global_offset_x
      - .offset:         176
        .size:           8
        .value_kind:     hidden_global_offset_y
      - .offset:         184
        .size:           8
        .value_kind:     hidden_global_offset_z
      - .offset:         192
        .size:           2
        .value_kind:     hidden_grid_dims
    .group_segment_fixed_size: 32768
    .kernarg_segment_align: 8
    .kernarg_segment_size: 384
    .language:       OpenCL C
    .language_version:
      - 2
      - 0
    .max_flat_workgroup_size: 1024
    .name:           _ZL24rocblas_symm_hemm_kernelILb0ELb1ELi32EPK19rocblas_complex_numIdEPKS3_PKPS1_EvbiiT2_T3_lllSA_lllT4_llli
    .private_segment_fixed_size: 0
    .sgpr_count:     40
    .sgpr_spill_count: 0
    .symbol:         _ZL24rocblas_symm_hemm_kernelILb0ELb1ELi32EPK19rocblas_complex_numIdEPKS3_PKPS1_EvbiiT2_T3_lllSA_lllT4_llli.kd
    .uniform_work_group_size: 1
    .uses_dynamic_stack: false
    .vgpr_count:     40
    .vgpr_spill_count: 0
    .wavefront_size: 64
  - .agpr_count:     0
    .args:
      - .offset:         0
        .size:           4
        .value_kind:     by_value
      - .offset:         4
        .size:           4
        .value_kind:     by_value
      - .offset:         8
        .size:           16
        .value_kind:     by_value
      - .address_space:  global
        .offset:         24
        .size:           8
        .value_kind:     global_buffer
      - .offset:         32
        .size:           8
        .value_kind:     by_value
      - .offset:         40
        .size:           8
        .value_kind:     by_value
      - .offset:         48
        .size:           8
        .value_kind:     by_value
      - .offset:         56
        .size:           4
        .value_kind:     by_value
      - .offset:         64
        .size:           4
        .value_kind:     hidden_block_count_x
      - .offset:         68
        .size:           4
        .value_kind:     hidden_block_count_y
      - .offset:         72
        .size:           4
        .value_kind:     hidden_block_count_z
      - .offset:         76
        .size:           2
        .value_kind:     hidden_group_size_x
      - .offset:         78
        .size:           2
        .value_kind:     hidden_group_size_y
      - .offset:         80
        .size:           2
        .value_kind:     hidden_group_size_z
      - .offset:         82
        .size:           2
        .value_kind:     hidden_remainder_x
      - .offset:         84
        .size:           2
        .value_kind:     hidden_remainder_y
      - .offset:         86
        .size:           2
        .value_kind:     hidden_remainder_z
      - .offset:         104
        .size:           8
        .value_kind:     hidden_global_offset_x
      - .offset:         112
        .size:           8
        .value_kind:     hidden_global_offset_y
      - .offset:         120
        .size:           8
        .value_kind:     hidden_global_offset_z
      - .offset:         128
        .size:           2
        .value_kind:     hidden_grid_dims
    .group_segment_fixed_size: 0
    .kernarg_segment_align: 8
    .kernarg_segment_size: 320
    .language:       OpenCL C
    .language_version:
      - 2
      - 0
    .max_flat_workgroup_size: 1024
    .name:           _ZL25rocblas_symm_scale_kernelILi128ELi8E19rocblas_complex_numIdEPKPS1_EviiT1_T2_llli
    .private_segment_fixed_size: 0
    .sgpr_count:     26
    .sgpr_spill_count: 0
    .symbol:         _ZL25rocblas_symm_scale_kernelILi128ELi8E19rocblas_complex_numIdEPKPS1_EviiT1_T2_llli.kd
    .uniform_work_group_size: 1
    .uses_dynamic_stack: false
    .vgpr_count:     14
    .vgpr_spill_count: 0
    .wavefront_size: 64
  - .agpr_count:     0
    .args:
      - .offset:         0
        .size:           1
        .value_kind:     by_value
      - .offset:         4
        .size:           4
        .value_kind:     by_value
      - .offset:         8
        .size:           4
        .value_kind:     by_value
      - .offset:         16
        .size:           16
        .value_kind:     by_value
      - .address_space:  global
        .offset:         32
        .size:           8
        .value_kind:     global_buffer
      - .offset:         40
        .size:           8
        .value_kind:     by_value
      - .offset:         48
        .size:           8
        .value_kind:     by_value
      - .offset:         56
        .size:           8
        .value_kind:     by_value
      - .address_space:  global
        .offset:         64
        .size:           8
        .value_kind:     global_buffer
      - .offset:         72
        .size:           8
        .value_kind:     by_value
      - .offset:         80
        .size:           8
        .value_kind:     by_value
      - .offset:         88
        .size:           8
        .value_kind:     by_value
      - .address_space:  global
        .offset:         96
        .size:           8
        .value_kind:     global_buffer
      - .offset:         104
        .size:           8
        .value_kind:     by_value
      - .offset:         112
        .size:           8
        .value_kind:     by_value
      - .offset:         120
        .size:           8
        .value_kind:     by_value
      - .offset:         128
        .size:           4
        .value_kind:     by_value
      - .offset:         136
        .size:           4
        .value_kind:     hidden_block_count_x
      - .offset:         140
        .size:           4
        .value_kind:     hidden_block_count_y
      - .offset:         144
        .size:           4
        .value_kind:     hidden_block_count_z
      - .offset:         148
        .size:           2
        .value_kind:     hidden_group_size_x
      - .offset:         150
        .size:           2
        .value_kind:     hidden_group_size_y
      - .offset:         152
        .size:           2
        .value_kind:     hidden_group_size_z
      - .offset:         154
        .size:           2
        .value_kind:     hidden_remainder_x
      - .offset:         156
        .size:           2
        .value_kind:     hidden_remainder_y
      - .offset:         158
        .size:           2
        .value_kind:     hidden_remainder_z
      - .offset:         176
        .size:           8
        .value_kind:     hidden_global_offset_x
      - .offset:         184
        .size:           8
        .value_kind:     hidden_global_offset_y
      - .offset:         192
        .size:           8
        .value_kind:     hidden_global_offset_z
      - .offset:         200
        .size:           2
        .value_kind:     hidden_grid_dims
    .group_segment_fixed_size: 32768
    .kernarg_segment_align: 8
    .kernarg_segment_size: 392
    .language:       OpenCL C
    .language_version:
      - 2
      - 0
    .max_flat_workgroup_size: 1024
    .name:           _ZL24rocblas_symm_hemm_kernelILb0ELb0ELi32E19rocblas_complex_numIdEPKPKS1_PKPS1_EvbiiT2_T3_lllSA_lllT4_llli
    .private_segment_fixed_size: 0
    .sgpr_count:     36
    .sgpr_spill_count: 0
    .symbol:         _ZL24rocblas_symm_hemm_kernelILb0ELb0ELi32E19rocblas_complex_numIdEPKPKS1_PKPS1_EvbiiT2_T3_lllSA_lllT4_llli.kd
    .uniform_work_group_size: 1
    .uses_dynamic_stack: false
    .vgpr_count:     40
    .vgpr_spill_count: 0
    .wavefront_size: 64
  - .agpr_count:     0
    .args:
      - .offset:         0
        .size:           1
        .value_kind:     by_value
      - .offset:         4
        .size:           4
        .value_kind:     by_value
      - .offset:         8
        .size:           4
        .value_kind:     by_value
      - .offset:         16
        .size:           16
        .value_kind:     by_value
      - .address_space:  global
        .offset:         32
        .size:           8
        .value_kind:     global_buffer
      - .offset:         40
        .size:           8
        .value_kind:     by_value
      - .offset:         48
        .size:           8
        .value_kind:     by_value
      - .offset:         56
        .size:           8
        .value_kind:     by_value
      - .address_space:  global
        .offset:         64
        .size:           8
        .value_kind:     global_buffer
      - .offset:         72
        .size:           8
        .value_kind:     by_value
      - .offset:         80
        .size:           8
        .value_kind:     by_value
      - .offset:         88
        .size:           8
        .value_kind:     by_value
      - .address_space:  global
        .offset:         96
        .size:           8
        .value_kind:     global_buffer
      - .offset:         104
        .size:           8
        .value_kind:     by_value
      - .offset:         112
        .size:           8
        .value_kind:     by_value
      - .offset:         120
        .size:           8
        .value_kind:     by_value
      - .offset:         128
        .size:           4
        .value_kind:     by_value
      - .offset:         136
        .size:           4
        .value_kind:     hidden_block_count_x
      - .offset:         140
        .size:           4
        .value_kind:     hidden_block_count_y
      - .offset:         144
        .size:           4
        .value_kind:     hidden_block_count_z
      - .offset:         148
        .size:           2
        .value_kind:     hidden_group_size_x
      - .offset:         150
        .size:           2
        .value_kind:     hidden_group_size_y
      - .offset:         152
        .size:           2
        .value_kind:     hidden_group_size_z
      - .offset:         154
        .size:           2
        .value_kind:     hidden_remainder_x
      - .offset:         156
        .size:           2
        .value_kind:     hidden_remainder_y
      - .offset:         158
        .size:           2
        .value_kind:     hidden_remainder_z
      - .offset:         176
        .size:           8
        .value_kind:     hidden_global_offset_x
      - .offset:         184
        .size:           8
        .value_kind:     hidden_global_offset_y
      - .offset:         192
        .size:           8
        .value_kind:     hidden_global_offset_z
      - .offset:         200
        .size:           2
        .value_kind:     hidden_grid_dims
    .group_segment_fixed_size: 32768
    .kernarg_segment_align: 8
    .kernarg_segment_size: 392
    .language:       OpenCL C
    .language_version:
      - 2
      - 0
    .max_flat_workgroup_size: 1024
    .name:           _ZL24rocblas_symm_hemm_kernelILb0ELb1ELi32E19rocblas_complex_numIdEPKPKS1_PKPS1_EvbiiT2_T3_lllSA_lllT4_llli
    .private_segment_fixed_size: 0
    .sgpr_count:     36
    .sgpr_spill_count: 0
    .symbol:         _ZL24rocblas_symm_hemm_kernelILb0ELb1ELi32E19rocblas_complex_numIdEPKPKS1_PKPS1_EvbiiT2_T3_lllSA_lllT4_llli.kd
    .uniform_work_group_size: 1
    .uses_dynamic_stack: false
    .vgpr_count:     40
    .vgpr_spill_count: 0
    .wavefront_size: 64
  - .agpr_count:     0
    .args:
      - .offset:         0
        .size:           1
        .value_kind:     by_value
      - .offset:         4
        .size:           4
        .value_kind:     by_value
      - .offset:         8
        .size:           4
        .value_kind:     by_value
      - .address_space:  global
        .offset:         16
        .size:           8
        .value_kind:     global_buffer
      - .address_space:  global
        .offset:         24
        .size:           8
        .value_kind:     global_buffer
      - .offset:         32
        .size:           8
        .value_kind:     by_value
      - .offset:         40
        .size:           8
        .value_kind:     by_value
      - .offset:         48
        .size:           8
        .value_kind:     by_value
      - .address_space:  global
        .offset:         56
        .size:           8
        .value_kind:     global_buffer
      - .offset:         64
        .size:           8
        .value_kind:     by_value
      - .offset:         72
        .size:           8
        .value_kind:     by_value
      - .offset:         80
        .size:           8
        .value_kind:     by_value
      - .address_space:  global
        .offset:         88
        .size:           8
        .value_kind:     global_buffer
      - .offset:         96
        .size:           8
        .value_kind:     by_value
      - .offset:         104
        .size:           8
        .value_kind:     by_value
      - .offset:         112
        .size:           8
        .value_kind:     by_value
      - .offset:         120
        .size:           4
        .value_kind:     by_value
      - .offset:         128
        .size:           4
        .value_kind:     hidden_block_count_x
      - .offset:         132
        .size:           4
        .value_kind:     hidden_block_count_y
      - .offset:         136
        .size:           4
        .value_kind:     hidden_block_count_z
      - .offset:         140
        .size:           2
        .value_kind:     hidden_group_size_x
      - .offset:         142
        .size:           2
        .value_kind:     hidden_group_size_y
      - .offset:         144
        .size:           2
        .value_kind:     hidden_group_size_z
      - .offset:         146
        .size:           2
        .value_kind:     hidden_remainder_x
      - .offset:         148
        .size:           2
        .value_kind:     hidden_remainder_y
      - .offset:         150
        .size:           2
        .value_kind:     hidden_remainder_z
      - .offset:         168
        .size:           8
        .value_kind:     hidden_global_offset_x
      - .offset:         176
        .size:           8
        .value_kind:     hidden_global_offset_y
      - .offset:         184
        .size:           8
        .value_kind:     hidden_global_offset_z
      - .offset:         192
        .size:           2
        .value_kind:     hidden_grid_dims
    .group_segment_fixed_size: 16384
    .kernarg_segment_align: 8
    .kernarg_segment_size: 384
    .language:       OpenCL C
    .language_version:
      - 2
      - 0
    .max_flat_workgroup_size: 1024
    .name:           _ZL24rocblas_symm_hemm_kernelILb1ELb0ELi32EPK19rocblas_complex_numIfEPKS3_PKPS1_EvbiiT2_T3_lllSA_lllT4_llli
    .private_segment_fixed_size: 0
    .sgpr_count:     36
    .sgpr_spill_count: 0
    .symbol:         _ZL24rocblas_symm_hemm_kernelILb1ELb0ELi32EPK19rocblas_complex_numIfEPKS3_PKPS1_EvbiiT2_T3_lllSA_lllT4_llli.kd
    .uniform_work_group_size: 1
    .uses_dynamic_stack: false
    .vgpr_count:     44
    .vgpr_spill_count: 0
    .wavefront_size: 64
  - .agpr_count:     0
    .args:
      - .offset:         0
        .size:           1
        .value_kind:     by_value
      - .offset:         4
        .size:           4
        .value_kind:     by_value
      - .offset:         8
        .size:           4
        .value_kind:     by_value
      - .address_space:  global
        .offset:         16
        .size:           8
        .value_kind:     global_buffer
      - .address_space:  global
        .offset:         24
        .size:           8
        .value_kind:     global_buffer
      - .offset:         32
        .size:           8
        .value_kind:     by_value
      - .offset:         40
        .size:           8
        .value_kind:     by_value
      - .offset:         48
        .size:           8
        .value_kind:     by_value
      - .address_space:  global
        .offset:         56
        .size:           8
        .value_kind:     global_buffer
      - .offset:         64
        .size:           8
        .value_kind:     by_value
      - .offset:         72
        .size:           8
        .value_kind:     by_value
      - .offset:         80
        .size:           8
        .value_kind:     by_value
      - .address_space:  global
        .offset:         88
        .size:           8
        .value_kind:     global_buffer
      - .offset:         96
        .size:           8
        .value_kind:     by_value
      - .offset:         104
        .size:           8
        .value_kind:     by_value
      - .offset:         112
        .size:           8
        .value_kind:     by_value
      - .offset:         120
        .size:           4
        .value_kind:     by_value
      - .offset:         128
        .size:           4
        .value_kind:     hidden_block_count_x
      - .offset:         132
        .size:           4
        .value_kind:     hidden_block_count_y
      - .offset:         136
        .size:           4
        .value_kind:     hidden_block_count_z
      - .offset:         140
        .size:           2
        .value_kind:     hidden_group_size_x
      - .offset:         142
        .size:           2
        .value_kind:     hidden_group_size_y
      - .offset:         144
        .size:           2
        .value_kind:     hidden_group_size_z
      - .offset:         146
        .size:           2
        .value_kind:     hidden_remainder_x
      - .offset:         148
        .size:           2
        .value_kind:     hidden_remainder_y
      - .offset:         150
        .size:           2
        .value_kind:     hidden_remainder_z
      - .offset:         168
        .size:           8
        .value_kind:     hidden_global_offset_x
      - .offset:         176
        .size:           8
        .value_kind:     hidden_global_offset_y
      - .offset:         184
        .size:           8
        .value_kind:     hidden_global_offset_z
      - .offset:         192
        .size:           2
        .value_kind:     hidden_grid_dims
    .group_segment_fixed_size: 16384
    .kernarg_segment_align: 8
    .kernarg_segment_size: 384
    .language:       OpenCL C
    .language_version:
      - 2
      - 0
    .max_flat_workgroup_size: 1024
    .name:           _ZL24rocblas_symm_hemm_kernelILb1ELb1ELi32EPK19rocblas_complex_numIfEPKS3_PKPS1_EvbiiT2_T3_lllSA_lllT4_llli
    .private_segment_fixed_size: 0
    .sgpr_count:     36
    .sgpr_spill_count: 0
    .symbol:         _ZL24rocblas_symm_hemm_kernelILb1ELb1ELi32EPK19rocblas_complex_numIfEPKS3_PKPS1_EvbiiT2_T3_lllSA_lllT4_llli.kd
    .uniform_work_group_size: 1
    .uses_dynamic_stack: false
    .vgpr_count:     46
    .vgpr_spill_count: 0
    .wavefront_size: 64
  - .agpr_count:     0
    .args:
      - .offset:         0
        .size:           1
        .value_kind:     by_value
      - .offset:         4
        .size:           4
        .value_kind:     by_value
      - .offset:         8
        .size:           4
        .value_kind:     by_value
      - .offset:         12
        .size:           8
        .value_kind:     by_value
      - .address_space:  global
        .offset:         24
        .size:           8
        .value_kind:     global_buffer
      - .offset:         32
        .size:           8
        .value_kind:     by_value
      - .offset:         40
        .size:           8
        .value_kind:     by_value
      - .offset:         48
        .size:           8
        .value_kind:     by_value
      - .address_space:  global
        .offset:         56
        .size:           8
        .value_kind:     global_buffer
      - .offset:         64
        .size:           8
        .value_kind:     by_value
      - .offset:         72
        .size:           8
        .value_kind:     by_value
      - .offset:         80
        .size:           8
        .value_kind:     by_value
      - .address_space:  global
        .offset:         88
        .size:           8
        .value_kind:     global_buffer
      - .offset:         96
        .size:           8
        .value_kind:     by_value
      - .offset:         104
        .size:           8
        .value_kind:     by_value
      - .offset:         112
        .size:           8
        .value_kind:     by_value
      - .offset:         120
        .size:           4
        .value_kind:     by_value
      - .offset:         128
        .size:           4
        .value_kind:     hidden_block_count_x
      - .offset:         132
        .size:           4
        .value_kind:     hidden_block_count_y
      - .offset:         136
        .size:           4
        .value_kind:     hidden_block_count_z
      - .offset:         140
        .size:           2
        .value_kind:     hidden_group_size_x
      - .offset:         142
        .size:           2
        .value_kind:     hidden_group_size_y
      - .offset:         144
        .size:           2
        .value_kind:     hidden_group_size_z
      - .offset:         146
        .size:           2
        .value_kind:     hidden_remainder_x
      - .offset:         148
        .size:           2
        .value_kind:     hidden_remainder_y
      - .offset:         150
        .size:           2
        .value_kind:     hidden_remainder_z
      - .offset:         168
        .size:           8
        .value_kind:     hidden_global_offset_x
      - .offset:         176
        .size:           8
        .value_kind:     hidden_global_offset_y
      - .offset:         184
        .size:           8
        .value_kind:     hidden_global_offset_z
      - .offset:         192
        .size:           2
        .value_kind:     hidden_grid_dims
    .group_segment_fixed_size: 16384
    .kernarg_segment_align: 8
    .kernarg_segment_size: 384
    .language:       OpenCL C
    .language_version:
      - 2
      - 0
    .max_flat_workgroup_size: 1024
    .name:           _ZL24rocblas_symm_hemm_kernelILb1ELb0ELi32E19rocblas_complex_numIfEPKPKS1_PKPS1_EvbiiT2_T3_lllSA_lllT4_llli
    .private_segment_fixed_size: 0
    .sgpr_count:     40
    .sgpr_spill_count: 0
    .symbol:         _ZL24rocblas_symm_hemm_kernelILb1ELb0ELi32E19rocblas_complex_numIfEPKPKS1_PKPS1_EvbiiT2_T3_lllSA_lllT4_llli.kd
    .uniform_work_group_size: 1
    .uses_dynamic_stack: false
    .vgpr_count:     44
    .vgpr_spill_count: 0
    .wavefront_size: 64
  - .agpr_count:     0
    .args:
      - .offset:         0
        .size:           1
        .value_kind:     by_value
      - .offset:         4
        .size:           4
        .value_kind:     by_value
      - .offset:         8
        .size:           4
        .value_kind:     by_value
      - .offset:         12
        .size:           8
        .value_kind:     by_value
      - .address_space:  global
        .offset:         24
        .size:           8
        .value_kind:     global_buffer
      - .offset:         32
        .size:           8
        .value_kind:     by_value
      - .offset:         40
        .size:           8
        .value_kind:     by_value
      - .offset:         48
        .size:           8
        .value_kind:     by_value
      - .address_space:  global
        .offset:         56
        .size:           8
        .value_kind:     global_buffer
      - .offset:         64
        .size:           8
        .value_kind:     by_value
      - .offset:         72
        .size:           8
        .value_kind:     by_value
      - .offset:         80
        .size:           8
        .value_kind:     by_value
      - .address_space:  global
        .offset:         88
        .size:           8
        .value_kind:     global_buffer
      - .offset:         96
        .size:           8
        .value_kind:     by_value
      - .offset:         104
        .size:           8
        .value_kind:     by_value
      - .offset:         112
        .size:           8
        .value_kind:     by_value
      - .offset:         120
        .size:           4
        .value_kind:     by_value
      - .offset:         128
        .size:           4
        .value_kind:     hidden_block_count_x
      - .offset:         132
        .size:           4
        .value_kind:     hidden_block_count_y
      - .offset:         136
        .size:           4
        .value_kind:     hidden_block_count_z
      - .offset:         140
        .size:           2
        .value_kind:     hidden_group_size_x
      - .offset:         142
        .size:           2
        .value_kind:     hidden_group_size_y
      - .offset:         144
        .size:           2
        .value_kind:     hidden_group_size_z
      - .offset:         146
        .size:           2
        .value_kind:     hidden_remainder_x
      - .offset:         148
        .size:           2
        .value_kind:     hidden_remainder_y
      - .offset:         150
        .size:           2
        .value_kind:     hidden_remainder_z
      - .offset:         168
        .size:           8
        .value_kind:     hidden_global_offset_x
      - .offset:         176
        .size:           8
        .value_kind:     hidden_global_offset_y
      - .offset:         184
        .size:           8
        .value_kind:     hidden_global_offset_z
      - .offset:         192
        .size:           2
        .value_kind:     hidden_grid_dims
    .group_segment_fixed_size: 16384
    .kernarg_segment_align: 8
    .kernarg_segment_size: 384
    .language:       OpenCL C
    .language_version:
      - 2
      - 0
    .max_flat_workgroup_size: 1024
    .name:           _ZL24rocblas_symm_hemm_kernelILb1ELb1ELi32E19rocblas_complex_numIfEPKPKS1_PKPS1_EvbiiT2_T3_lllSA_lllT4_llli
    .private_segment_fixed_size: 0
    .sgpr_count:     44
    .sgpr_spill_count: 0
    .symbol:         _ZL24rocblas_symm_hemm_kernelILb1ELb1ELi32E19rocblas_complex_numIfEPKPKS1_PKPS1_EvbiiT2_T3_lllSA_lllT4_llli.kd
    .uniform_work_group_size: 1
    .uses_dynamic_stack: false
    .vgpr_count:     46
    .vgpr_spill_count: 0
    .wavefront_size: 64
  - .agpr_count:     0
    .args:
      - .offset:         0
        .size:           1
        .value_kind:     by_value
      - .offset:         4
        .size:           4
        .value_kind:     by_value
      - .offset:         8
        .size:           4
        .value_kind:     by_value
      - .address_space:  global
        .offset:         16
        .size:           8
        .value_kind:     global_buffer
      - .address_space:  global
        .offset:         24
        .size:           8
        .value_kind:     global_buffer
      - .offset:         32
        .size:           8
        .value_kind:     by_value
      - .offset:         40
        .size:           8
        .value_kind:     by_value
      - .offset:         48
        .size:           8
        .value_kind:     by_value
      - .address_space:  global
        .offset:         56
        .size:           8
        .value_kind:     global_buffer
      - .offset:         64
        .size:           8
        .value_kind:     by_value
      - .offset:         72
        .size:           8
        .value_kind:     by_value
      - .offset:         80
        .size:           8
        .value_kind:     by_value
      - .address_space:  global
        .offset:         88
        .size:           8
        .value_kind:     global_buffer
      - .offset:         96
        .size:           8
        .value_kind:     by_value
      - .offset:         104
        .size:           8
        .value_kind:     by_value
      - .offset:         112
        .size:           8
        .value_kind:     by_value
      - .offset:         120
        .size:           4
        .value_kind:     by_value
      - .offset:         128
        .size:           4
        .value_kind:     hidden_block_count_x
      - .offset:         132
        .size:           4
        .value_kind:     hidden_block_count_y
      - .offset:         136
        .size:           4
        .value_kind:     hidden_block_count_z
      - .offset:         140
        .size:           2
        .value_kind:     hidden_group_size_x
      - .offset:         142
        .size:           2
        .value_kind:     hidden_group_size_y
      - .offset:         144
        .size:           2
        .value_kind:     hidden_group_size_z
      - .offset:         146
        .size:           2
        .value_kind:     hidden_remainder_x
      - .offset:         148
        .size:           2
        .value_kind:     hidden_remainder_y
      - .offset:         150
        .size:           2
        .value_kind:     hidden_remainder_z
      - .offset:         168
        .size:           8
        .value_kind:     hidden_global_offset_x
      - .offset:         176
        .size:           8
        .value_kind:     hidden_global_offset_y
      - .offset:         184
        .size:           8
        .value_kind:     hidden_global_offset_z
      - .offset:         192
        .size:           2
        .value_kind:     hidden_grid_dims
    .group_segment_fixed_size: 32768
    .kernarg_segment_align: 8
    .kernarg_segment_size: 384
    .language:       OpenCL C
    .language_version:
      - 2
      - 0
    .max_flat_workgroup_size: 1024
    .name:           _ZL24rocblas_symm_hemm_kernelILb1ELb0ELi32EPK19rocblas_complex_numIdEPKS3_PKPS1_EvbiiT2_T3_lllSA_lllT4_llli
    .private_segment_fixed_size: 0
    .sgpr_count:     40
    .sgpr_spill_count: 0
    .symbol:         _ZL24rocblas_symm_hemm_kernelILb1ELb0ELi32EPK19rocblas_complex_numIdEPKS3_PKPS1_EvbiiT2_T3_lllSA_lllT4_llli.kd
    .uniform_work_group_size: 1
    .uses_dynamic_stack: false
    .vgpr_count:     46
    .vgpr_spill_count: 0
    .wavefront_size: 64
  - .agpr_count:     0
    .args:
      - .offset:         0
        .size:           1
        .value_kind:     by_value
      - .offset:         4
        .size:           4
        .value_kind:     by_value
      - .offset:         8
        .size:           4
        .value_kind:     by_value
      - .address_space:  global
        .offset:         16
        .size:           8
        .value_kind:     global_buffer
      - .address_space:  global
        .offset:         24
        .size:           8
        .value_kind:     global_buffer
      - .offset:         32
        .size:           8
        .value_kind:     by_value
      - .offset:         40
        .size:           8
        .value_kind:     by_value
      - .offset:         48
        .size:           8
        .value_kind:     by_value
      - .address_space:  global
        .offset:         56
        .size:           8
        .value_kind:     global_buffer
      - .offset:         64
        .size:           8
        .value_kind:     by_value
      - .offset:         72
        .size:           8
        .value_kind:     by_value
      - .offset:         80
        .size:           8
        .value_kind:     by_value
      - .address_space:  global
        .offset:         88
        .size:           8
        .value_kind:     global_buffer
      - .offset:         96
        .size:           8
        .value_kind:     by_value
      - .offset:         104
        .size:           8
        .value_kind:     by_value
      - .offset:         112
        .size:           8
        .value_kind:     by_value
      - .offset:         120
        .size:           4
        .value_kind:     by_value
      - .offset:         128
        .size:           4
        .value_kind:     hidden_block_count_x
      - .offset:         132
        .size:           4
        .value_kind:     hidden_block_count_y
      - .offset:         136
        .size:           4
        .value_kind:     hidden_block_count_z
      - .offset:         140
        .size:           2
        .value_kind:     hidden_group_size_x
      - .offset:         142
        .size:           2
        .value_kind:     hidden_group_size_y
      - .offset:         144
        .size:           2
        .value_kind:     hidden_group_size_z
      - .offset:         146
        .size:           2
        .value_kind:     hidden_remainder_x
      - .offset:         148
        .size:           2
        .value_kind:     hidden_remainder_y
      - .offset:         150
        .size:           2
        .value_kind:     hidden_remainder_z
      - .offset:         168
        .size:           8
        .value_kind:     hidden_global_offset_x
      - .offset:         176
        .size:           8
        .value_kind:     hidden_global_offset_y
      - .offset:         184
        .size:           8
        .value_kind:     hidden_global_offset_z
      - .offset:         192
        .size:           2
        .value_kind:     hidden_grid_dims
    .group_segment_fixed_size: 32768
    .kernarg_segment_align: 8
    .kernarg_segment_size: 384
    .language:       OpenCL C
    .language_version:
      - 2
      - 0
    .max_flat_workgroup_size: 1024
    .name:           _ZL24rocblas_symm_hemm_kernelILb1ELb1ELi32EPK19rocblas_complex_numIdEPKS3_PKPS1_EvbiiT2_T3_lllSA_lllT4_llli
    .private_segment_fixed_size: 0
    .sgpr_count:     44
    .sgpr_spill_count: 0
    .symbol:         _ZL24rocblas_symm_hemm_kernelILb1ELb1ELi32EPK19rocblas_complex_numIdEPKS3_PKPS1_EvbiiT2_T3_lllSA_lllT4_llli.kd
    .uniform_work_group_size: 1
    .uses_dynamic_stack: false
    .vgpr_count:     48
    .vgpr_spill_count: 0
    .wavefront_size: 64
  - .agpr_count:     0
    .args:
      - .offset:         0
        .size:           1
        .value_kind:     by_value
      - .offset:         4
        .size:           4
        .value_kind:     by_value
      - .offset:         8
        .size:           4
        .value_kind:     by_value
      - .offset:         16
        .size:           16
        .value_kind:     by_value
      - .address_space:  global
        .offset:         32
        .size:           8
        .value_kind:     global_buffer
      - .offset:         40
        .size:           8
        .value_kind:     by_value
      - .offset:         48
        .size:           8
        .value_kind:     by_value
      - .offset:         56
        .size:           8
        .value_kind:     by_value
      - .address_space:  global
        .offset:         64
        .size:           8
        .value_kind:     global_buffer
      - .offset:         72
        .size:           8
        .value_kind:     by_value
      - .offset:         80
        .size:           8
        .value_kind:     by_value
      - .offset:         88
        .size:           8
        .value_kind:     by_value
      - .address_space:  global
        .offset:         96
        .size:           8
        .value_kind:     global_buffer
      - .offset:         104
        .size:           8
        .value_kind:     by_value
      - .offset:         112
        .size:           8
        .value_kind:     by_value
      - .offset:         120
        .size:           8
        .value_kind:     by_value
      - .offset:         128
        .size:           4
        .value_kind:     by_value
      - .offset:         136
        .size:           4
        .value_kind:     hidden_block_count_x
      - .offset:         140
        .size:           4
        .value_kind:     hidden_block_count_y
      - .offset:         144
        .size:           4
        .value_kind:     hidden_block_count_z
      - .offset:         148
        .size:           2
        .value_kind:     hidden_group_size_x
      - .offset:         150
        .size:           2
        .value_kind:     hidden_group_size_y
      - .offset:         152
        .size:           2
        .value_kind:     hidden_group_size_z
      - .offset:         154
        .size:           2
        .value_kind:     hidden_remainder_x
      - .offset:         156
        .size:           2
        .value_kind:     hidden_remainder_y
      - .offset:         158
        .size:           2
        .value_kind:     hidden_remainder_z
      - .offset:         176
        .size:           8
        .value_kind:     hidden_global_offset_x
      - .offset:         184
        .size:           8
        .value_kind:     hidden_global_offset_y
      - .offset:         192
        .size:           8
        .value_kind:     hidden_global_offset_z
      - .offset:         200
        .size:           2
        .value_kind:     hidden_grid_dims
    .group_segment_fixed_size: 32768
    .kernarg_segment_align: 8
    .kernarg_segment_size: 392
    .language:       OpenCL C
    .language_version:
      - 2
      - 0
    .max_flat_workgroup_size: 1024
    .name:           _ZL24rocblas_symm_hemm_kernelILb1ELb0ELi32E19rocblas_complex_numIdEPKPKS1_PKPS1_EvbiiT2_T3_lllSA_lllT4_llli
    .private_segment_fixed_size: 0
    .sgpr_count:     39
    .sgpr_spill_count: 0
    .symbol:         _ZL24rocblas_symm_hemm_kernelILb1ELb0ELi32E19rocblas_complex_numIdEPKPKS1_PKPS1_EvbiiT2_T3_lllSA_lllT4_llli.kd
    .uniform_work_group_size: 1
    .uses_dynamic_stack: false
    .vgpr_count:     46
    .vgpr_spill_count: 0
    .wavefront_size: 64
  - .agpr_count:     0
    .args:
      - .offset:         0
        .size:           1
        .value_kind:     by_value
      - .offset:         4
        .size:           4
        .value_kind:     by_value
      - .offset:         8
        .size:           4
        .value_kind:     by_value
      - .offset:         16
        .size:           16
        .value_kind:     by_value
      - .address_space:  global
        .offset:         32
        .size:           8
        .value_kind:     global_buffer
      - .offset:         40
        .size:           8
        .value_kind:     by_value
      - .offset:         48
        .size:           8
        .value_kind:     by_value
      - .offset:         56
        .size:           8
        .value_kind:     by_value
      - .address_space:  global
        .offset:         64
        .size:           8
        .value_kind:     global_buffer
      - .offset:         72
        .size:           8
        .value_kind:     by_value
      - .offset:         80
        .size:           8
        .value_kind:     by_value
      - .offset:         88
        .size:           8
        .value_kind:     by_value
      - .address_space:  global
        .offset:         96
        .size:           8
        .value_kind:     global_buffer
      - .offset:         104
        .size:           8
        .value_kind:     by_value
      - .offset:         112
        .size:           8
        .value_kind:     by_value
      - .offset:         120
        .size:           8
        .value_kind:     by_value
      - .offset:         128
        .size:           4
        .value_kind:     by_value
      - .offset:         136
        .size:           4
        .value_kind:     hidden_block_count_x
      - .offset:         140
        .size:           4
        .value_kind:     hidden_block_count_y
      - .offset:         144
        .size:           4
        .value_kind:     hidden_block_count_z
      - .offset:         148
        .size:           2
        .value_kind:     hidden_group_size_x
      - .offset:         150
        .size:           2
        .value_kind:     hidden_group_size_y
      - .offset:         152
        .size:           2
        .value_kind:     hidden_group_size_z
      - .offset:         154
        .size:           2
        .value_kind:     hidden_remainder_x
      - .offset:         156
        .size:           2
        .value_kind:     hidden_remainder_y
      - .offset:         158
        .size:           2
        .value_kind:     hidden_remainder_z
      - .offset:         176
        .size:           8
        .value_kind:     hidden_global_offset_x
      - .offset:         184
        .size:           8
        .value_kind:     hidden_global_offset_y
      - .offset:         192
        .size:           8
        .value_kind:     hidden_global_offset_z
      - .offset:         200
        .size:           2
        .value_kind:     hidden_grid_dims
    .group_segment_fixed_size: 32768
    .kernarg_segment_align: 8
    .kernarg_segment_size: 392
    .language:       OpenCL C
    .language_version:
      - 2
      - 0
    .max_flat_workgroup_size: 1024
    .name:           _ZL24rocblas_symm_hemm_kernelILb1ELb1ELi32E19rocblas_complex_numIdEPKPKS1_PKPS1_EvbiiT2_T3_lllSA_lllT4_llli
    .private_segment_fixed_size: 0
    .sgpr_count:     36
    .sgpr_spill_count: 0
    .symbol:         _ZL24rocblas_symm_hemm_kernelILb1ELb1ELi32E19rocblas_complex_numIdEPKPKS1_PKPS1_EvbiiT2_T3_lllSA_lllT4_llli.kd
    .uniform_work_group_size: 1
    .uses_dynamic_stack: false
    .vgpr_count:     48
    .vgpr_spill_count: 0
    .wavefront_size: 64
amdhsa.target:   amdgcn-amd-amdhsa--gfx90a
amdhsa.version:
  - 1
  - 2
...

	.end_amdgpu_metadata
